;; amdgpu-corpus repo=ROCm/rocSPARSE kind=compiled arch=gfx1100 opt=O3
	.text
	.amdgcn_target "amdgcn-amd-amdhsa--gfx1100"
	.amdhsa_code_object_version 6
	.section	.text._ZN9rocsparseL23nnz_total_device_kernelEiPKiPi,"axG",@progbits,_ZN9rocsparseL23nnz_total_device_kernelEiPKiPi,comdat
	.globl	_ZN9rocsparseL23nnz_total_device_kernelEiPKiPi ; -- Begin function _ZN9rocsparseL23nnz_total_device_kernelEiPKiPi
	.p2align	8
	.type	_ZN9rocsparseL23nnz_total_device_kernelEiPKiPi,@function
_ZN9rocsparseL23nnz_total_device_kernelEiPKiPi: ; @_ZN9rocsparseL23nnz_total_device_kernelEiPKiPi
; %bb.0:
	s_cmp_lg_u32 0, 0
	s_cbranch_scc0 .LBB0_2
; %bb.1:
	s_endpgm
.LBB0_2:
	s_clause 0x1
	s_load_b32 s4, s[0:1], 0x0
	s_load_b128 s[0:3], s[0:1], 0x8
	s_waitcnt lgkmcnt(0)
	s_ashr_i32 s5, s4, 31
	s_delay_alu instid0(SALU_CYCLE_1) | instskip(NEXT) | instid1(SALU_CYCLE_1)
	s_lshl_b64 s[4:5], s[4:5], 2
	s_add_u32 s4, s0, s4
	s_addc_u32 s5, s1, s5
	s_clause 0x1
	s_load_b32 s4, s[4:5], 0x0
	s_load_b32 s0, s[0:1], 0x0
	s_waitcnt lgkmcnt(0)
	s_sub_i32 s0, s4, s0
	s_delay_alu instid0(SALU_CYCLE_1)
	v_dual_mov_b32 v0, 0 :: v_dual_mov_b32 v1, s0
	global_store_b32 v0, v1, s[2:3]
	s_nop 0
	s_sendmsg sendmsg(MSG_DEALLOC_VGPRS)
	s_endpgm
	.section	.rodata,"a",@progbits
	.p2align	6, 0x0
	.amdhsa_kernel _ZN9rocsparseL23nnz_total_device_kernelEiPKiPi
		.amdhsa_group_segment_fixed_size 0
		.amdhsa_private_segment_fixed_size 0
		.amdhsa_kernarg_size 24
		.amdhsa_user_sgpr_count 15
		.amdhsa_user_sgpr_dispatch_ptr 0
		.amdhsa_user_sgpr_queue_ptr 0
		.amdhsa_user_sgpr_kernarg_segment_ptr 1
		.amdhsa_user_sgpr_dispatch_id 0
		.amdhsa_user_sgpr_private_segment_size 0
		.amdhsa_wavefront_size32 1
		.amdhsa_uses_dynamic_stack 0
		.amdhsa_enable_private_segment 0
		.amdhsa_system_sgpr_workgroup_id_x 1
		.amdhsa_system_sgpr_workgroup_id_y 0
		.amdhsa_system_sgpr_workgroup_id_z 0
		.amdhsa_system_sgpr_workgroup_info 0
		.amdhsa_system_vgpr_workitem_id 0
		.amdhsa_next_free_vgpr 2
		.amdhsa_next_free_sgpr 6
		.amdhsa_reserve_vcc 0
		.amdhsa_float_round_mode_32 0
		.amdhsa_float_round_mode_16_64 0
		.amdhsa_float_denorm_mode_32 3
		.amdhsa_float_denorm_mode_16_64 3
		.amdhsa_dx10_clamp 1
		.amdhsa_ieee_mode 1
		.amdhsa_fp16_overflow 0
		.amdhsa_workgroup_processor_mode 1
		.amdhsa_memory_ordered 1
		.amdhsa_forward_progress 0
		.amdhsa_shared_vgpr_count 0
		.amdhsa_exception_fp_ieee_invalid_op 0
		.amdhsa_exception_fp_denorm_src 0
		.amdhsa_exception_fp_ieee_div_zero 0
		.amdhsa_exception_fp_ieee_overflow 0
		.amdhsa_exception_fp_ieee_underflow 0
		.amdhsa_exception_fp_ieee_inexact 0
		.amdhsa_exception_int_div_zero 0
	.end_amdhsa_kernel
	.section	.text._ZN9rocsparseL23nnz_total_device_kernelEiPKiPi,"axG",@progbits,_ZN9rocsparseL23nnz_total_device_kernelEiPKiPi,comdat
.Lfunc_end0:
	.size	_ZN9rocsparseL23nnz_total_device_kernelEiPKiPi, .Lfunc_end0-_ZN9rocsparseL23nnz_total_device_kernelEiPKiPi
                                        ; -- End function
	.section	.AMDGPU.csdata,"",@progbits
; Kernel info:
; codeLenInByte = 116
; NumSgprs: 6
; NumVgprs: 2
; ScratchSize: 0
; MemoryBound: 0
; FloatMode: 240
; IeeeMode: 1
; LDSByteSize: 0 bytes/workgroup (compile time only)
; SGPRBlocks: 0
; VGPRBlocks: 0
; NumSGPRsForWavesPerEU: 6
; NumVGPRsForWavesPerEU: 2
; Occupancy: 16
; WaveLimiterHint : 0
; COMPUTE_PGM_RSRC2:SCRATCH_EN: 0
; COMPUTE_PGM_RSRC2:USER_SGPR: 15
; COMPUTE_PGM_RSRC2:TRAP_HANDLER: 0
; COMPUTE_PGM_RSRC2:TGID_X_EN: 1
; COMPUTE_PGM_RSRC2:TGID_Y_EN: 0
; COMPUTE_PGM_RSRC2:TGID_Z_EN: 0
; COMPUTE_PGM_RSRC2:TIDIG_COMP_CNT: 0
	.section	.text._ZN9rocsparseL10abs_kernelILi256EfEEviiPKT0_lPS1_,"axG",@progbits,_ZN9rocsparseL10abs_kernelILi256EfEEviiPKT0_lPS1_,comdat
	.globl	_ZN9rocsparseL10abs_kernelILi256EfEEviiPKT0_lPS1_ ; -- Begin function _ZN9rocsparseL10abs_kernelILi256EfEEviiPKT0_lPS1_
	.p2align	8
	.type	_ZN9rocsparseL10abs_kernelILi256EfEEviiPKT0_lPS1_,@function
_ZN9rocsparseL10abs_kernelILi256EfEEviiPKT0_lPS1_: ; @_ZN9rocsparseL10abs_kernelILi256EfEEviiPKT0_lPS1_
; %bb.0:
	s_load_b64 s[2:3], s[0:1], 0x0
	v_lshl_or_b32 v0, s15, 8, v0
	s_waitcnt lgkmcnt(0)
	s_mul_i32 s3, s3, s2
	s_delay_alu instid0(VALU_DEP_1) | instid1(SALU_CYCLE_1)
	v_cmp_gt_i32_e32 vcc_lo, s3, v0
	s_and_saveexec_b32 s3, vcc_lo
	s_cbranch_execz .LBB1_2
; %bb.1:
	s_abs_i32 s3, s2
	v_sub_nc_u32_e32 v3, 0, v0
	v_cvt_f32_u32_e32 v1, s3
	s_sub_i32 s4, 0, s3
	s_delay_alu instid0(VALU_DEP_2) | instskip(NEXT) | instid1(VALU_DEP_2)
	v_max_i32_e32 v3, v0, v3
	v_rcp_iflag_f32_e32 v1, v1
	s_waitcnt_depctr 0xfff
	v_mul_f32_e32 v1, 0x4f7ffffe, v1
	s_delay_alu instid0(VALU_DEP_1) | instskip(NEXT) | instid1(VALU_DEP_1)
	v_cvt_u32_f32_e32 v1, v1
	v_mul_lo_u32 v2, s4, v1
	s_clause 0x1
	s_load_b128 s[4:7], s[0:1], 0x8
	s_load_b64 s[0:1], s[0:1], 0x18
	s_delay_alu instid0(VALU_DEP_1) | instskip(NEXT) | instid1(VALU_DEP_1)
	v_mul_hi_u32 v2, v1, v2
	v_add_nc_u32_e32 v1, v1, v2
	s_delay_alu instid0(VALU_DEP_1) | instskip(NEXT) | instid1(VALU_DEP_1)
	v_mul_hi_u32 v1, v3, v1
	v_mul_lo_u32 v2, v1, s3
	s_delay_alu instid0(VALU_DEP_1) | instskip(SKIP_1) | instid1(VALU_DEP_2)
	v_sub_nc_u32_e32 v2, v3, v2
	v_add_nc_u32_e32 v3, 1, v1
	v_subrev_nc_u32_e32 v4, s3, v2
	v_cmp_le_u32_e32 vcc_lo, s3, v2
	s_delay_alu instid0(VALU_DEP_2) | instskip(SKIP_1) | instid1(VALU_DEP_2)
	v_dual_cndmask_b32 v2, v2, v4 :: v_dual_cndmask_b32 v1, v1, v3
	v_xor_b32_e32 v3, s2, v0
	v_cmp_le_u32_e32 vcc_lo, s3, v2
	s_delay_alu instid0(VALU_DEP_3) | instskip(NEXT) | instid1(VALU_DEP_3)
	v_add_nc_u32_e32 v4, 1, v1
	v_ashrrev_i32_e32 v3, 31, v3
	s_delay_alu instid0(VALU_DEP_2) | instskip(NEXT) | instid1(VALU_DEP_1)
	v_cndmask_b32_e32 v1, v1, v4, vcc_lo
	v_xor_b32_e32 v1, v1, v3
	s_delay_alu instid0(VALU_DEP_1) | instskip(NEXT) | instid1(VALU_DEP_1)
	v_sub_nc_u32_e32 v3, v1, v3
	v_ashrrev_i32_e32 v4, 31, v3
	v_mul_lo_u32 v5, v3, s2
	s_waitcnt lgkmcnt(0)
	v_mul_lo_u32 v6, v3, s7
	v_mad_u64_u32 v[1:2], null, v3, s6, 0
	v_mul_lo_u32 v4, v4, s6
	s_delay_alu instid0(VALU_DEP_4) | instskip(NEXT) | instid1(VALU_DEP_2)
	v_sub_nc_u32_e32 v3, v0, v5
	v_add3_u32 v2, v2, v6, v4
	s_delay_alu instid0(VALU_DEP_2) | instskip(NEXT) | instid1(VALU_DEP_2)
	v_ashrrev_i32_e32 v4, 31, v3
	v_lshlrev_b64 v[1:2], 2, v[1:2]
	s_delay_alu instid0(VALU_DEP_2) | instskip(NEXT) | instid1(VALU_DEP_2)
	v_lshlrev_b64 v[3:4], 2, v[3:4]
	v_add_co_u32 v1, vcc_lo, s4, v1
	s_delay_alu instid0(VALU_DEP_3) | instskip(NEXT) | instid1(VALU_DEP_2)
	v_add_co_ci_u32_e32 v2, vcc_lo, s5, v2, vcc_lo
	v_add_co_u32 v1, vcc_lo, v1, v3
	s_delay_alu instid0(VALU_DEP_2) | instskip(SKIP_2) | instid1(VALU_DEP_1)
	v_add_co_ci_u32_e32 v2, vcc_lo, v2, v4, vcc_lo
	global_load_b32 v2, v[1:2], off
	v_ashrrev_i32_e32 v1, 31, v0
	v_lshlrev_b64 v[0:1], 2, v[0:1]
	s_waitcnt vmcnt(0)
	v_cmp_gt_f32_e32 vcc_lo, 0, v2
	v_cndmask_b32_e64 v2, v2, -v2, vcc_lo
	s_delay_alu instid0(VALU_DEP_3) | instskip(NEXT) | instid1(VALU_DEP_4)
	v_add_co_u32 v0, vcc_lo, s0, v0
	v_add_co_ci_u32_e32 v1, vcc_lo, s1, v1, vcc_lo
	global_store_b32 v[0:1], v2, off
.LBB1_2:
	s_nop 0
	s_sendmsg sendmsg(MSG_DEALLOC_VGPRS)
	s_endpgm
	.section	.rodata,"a",@progbits
	.p2align	6, 0x0
	.amdhsa_kernel _ZN9rocsparseL10abs_kernelILi256EfEEviiPKT0_lPS1_
		.amdhsa_group_segment_fixed_size 0
		.amdhsa_private_segment_fixed_size 0
		.amdhsa_kernarg_size 32
		.amdhsa_user_sgpr_count 15
		.amdhsa_user_sgpr_dispatch_ptr 0
		.amdhsa_user_sgpr_queue_ptr 0
		.amdhsa_user_sgpr_kernarg_segment_ptr 1
		.amdhsa_user_sgpr_dispatch_id 0
		.amdhsa_user_sgpr_private_segment_size 0
		.amdhsa_wavefront_size32 1
		.amdhsa_uses_dynamic_stack 0
		.amdhsa_enable_private_segment 0
		.amdhsa_system_sgpr_workgroup_id_x 1
		.amdhsa_system_sgpr_workgroup_id_y 0
		.amdhsa_system_sgpr_workgroup_id_z 0
		.amdhsa_system_sgpr_workgroup_info 0
		.amdhsa_system_vgpr_workitem_id 0
		.amdhsa_next_free_vgpr 7
		.amdhsa_next_free_sgpr 16
		.amdhsa_reserve_vcc 1
		.amdhsa_float_round_mode_32 0
		.amdhsa_float_round_mode_16_64 0
		.amdhsa_float_denorm_mode_32 3
		.amdhsa_float_denorm_mode_16_64 3
		.amdhsa_dx10_clamp 1
		.amdhsa_ieee_mode 1
		.amdhsa_fp16_overflow 0
		.amdhsa_workgroup_processor_mode 1
		.amdhsa_memory_ordered 1
		.amdhsa_forward_progress 0
		.amdhsa_shared_vgpr_count 0
		.amdhsa_exception_fp_ieee_invalid_op 0
		.amdhsa_exception_fp_denorm_src 0
		.amdhsa_exception_fp_ieee_div_zero 0
		.amdhsa_exception_fp_ieee_overflow 0
		.amdhsa_exception_fp_ieee_underflow 0
		.amdhsa_exception_fp_ieee_inexact 0
		.amdhsa_exception_int_div_zero 0
	.end_amdhsa_kernel
	.section	.text._ZN9rocsparseL10abs_kernelILi256EfEEviiPKT0_lPS1_,"axG",@progbits,_ZN9rocsparseL10abs_kernelILi256EfEEviiPKT0_lPS1_,comdat
.Lfunc_end1:
	.size	_ZN9rocsparseL10abs_kernelILi256EfEEviiPKT0_lPS1_, .Lfunc_end1-_ZN9rocsparseL10abs_kernelILi256EfEEviiPKT0_lPS1_
                                        ; -- End function
	.section	.AMDGPU.csdata,"",@progbits
; Kernel info:
; codeLenInByte = 412
; NumSgprs: 18
; NumVgprs: 7
; ScratchSize: 0
; MemoryBound: 0
; FloatMode: 240
; IeeeMode: 1
; LDSByteSize: 0 bytes/workgroup (compile time only)
; SGPRBlocks: 2
; VGPRBlocks: 0
; NumSGPRsForWavesPerEU: 18
; NumVGPRsForWavesPerEU: 7
; Occupancy: 16
; WaveLimiterHint : 0
; COMPUTE_PGM_RSRC2:SCRATCH_EN: 0
; COMPUTE_PGM_RSRC2:USER_SGPR: 15
; COMPUTE_PGM_RSRC2:TRAP_HANDLER: 0
; COMPUTE_PGM_RSRC2:TGID_X_EN: 1
; COMPUTE_PGM_RSRC2:TGID_Y_EN: 0
; COMPUTE_PGM_RSRC2:TGID_Z_EN: 0
; COMPUTE_PGM_RSRC2:TIDIG_COMP_CNT: 0
	.section	.text._ZN9rocsparseL27prune_dense2csr_nnz_kernel2ILi64ELi16EfEEviiPKT1_lS3_Pi,"axG",@progbits,_ZN9rocsparseL27prune_dense2csr_nnz_kernel2ILi64ELi16EfEEviiPKT1_lS3_Pi,comdat
	.globl	_ZN9rocsparseL27prune_dense2csr_nnz_kernel2ILi64ELi16EfEEviiPKT1_lS3_Pi ; -- Begin function _ZN9rocsparseL27prune_dense2csr_nnz_kernel2ILi64ELi16EfEEviiPKT1_lS3_Pi
	.p2align	8
	.type	_ZN9rocsparseL27prune_dense2csr_nnz_kernel2ILi64ELi16EfEEviiPKT1_lS3_Pi,@function
_ZN9rocsparseL27prune_dense2csr_nnz_kernel2ILi64ELi16EfEEviiPKT1_lS3_Pi: ; @_ZN9rocsparseL27prune_dense2csr_nnz_kernel2ILi64ELi16EfEEviiPKT1_lS3_Pi
; %bb.0:
	s_clause 0x1
	s_load_b32 s2, s[0:1], 0x34
	s_load_b256 s[16:23], s[0:1], 0x0
	s_mov_b32 s8, 0
	s_load_b64 s[6:7], s[0:1], 0x20
	s_mov_b32 s9, s8
	s_mov_b32 s10, s8
	;; [unrolled: 1-line block ×3, first 2 shown]
	v_and_b32_e32 v1, 0x3ff, v0
	v_bfe_u32 v0, v0, 10, 10
	s_lshl_b32 s5, s15, 8
	s_mov_b32 s14, exec_lo
	s_waitcnt lgkmcnt(0)
	s_and_b32 s0, s2, 0xffff
	s_load_b32 s12, s[22:23], 0x0
	v_mad_u32_u24 v7, v0, s0, v1
	s_ashr_i32 s0, s17, 31
	s_delay_alu instid0(SALU_CYCLE_1) | instskip(NEXT) | instid1(SALU_CYCLE_1)
	s_lshr_b32 s0, s0, 26
	s_add_i32 s13, s17, s0
	s_delay_alu instid0(VALU_DEP_1) | instskip(SKIP_2) | instid1(VALU_DEP_2)
	v_lshrrev_b32_e32 v0, 4, v7
	v_and_b32_e32 v8, 63, v7
	s_and_not1_b32 s13, s13, 63
	v_dual_mov_b32 v0, s8 :: v_dual_and_b32 v9, 0x7ffffc, v0
	v_mov_b32_e32 v1, s9
	s_delay_alu instid0(VALU_DEP_3) | instskip(SKIP_1) | instid1(VALU_DEP_2)
	v_or_b32_e32 v4, s5, v8
	v_dual_mov_b32 v2, s10 :: v_dual_mov_b32 v3, s11
	v_or_b32_e32 v12, 64, v4
	v_or_b32_e32 v11, 0x80, v4
	;; [unrolled: 1-line block ×3, first 2 shown]
	v_cmpx_gt_i32_e64 s13, v9
	s_cbranch_execz .LBB2_12
; %bb.1:
	v_lshrrev_b32_e32 v6, 6, v7
	v_cmp_gt_i32_e32 vcc_lo, s16, v4
	v_cmp_gt_i32_e64 s0, s16, v12
	v_cmp_gt_i32_e64 s1, s16, v11
	v_cmp_gt_i32_e64 s2, s16, v10
	v_lshlrev_b32_e32 v21, 2, v6
	v_mad_u64_u32 v[0:1], null, s20, v6, 0
	s_delay_alu instid0(VALU_DEP_2) | instskip(SKIP_1) | instid1(VALU_DEP_2)
	v_or_b32_e32 v20, 2, v21
	v_or_b32_e32 v22, 3, v21
	v_mad_u64_u32 v[2:3], null, s20, v20, 0
	s_delay_alu instid0(VALU_DEP_2) | instskip(NEXT) | instid1(VALU_DEP_2)
	v_mad_u64_u32 v[15:16], null, s20, v22, 0
	v_mad_u64_u32 v[17:18], null, s21, v6, v[1:2]
	s_delay_alu instid0(VALU_DEP_2) | instskip(SKIP_2) | instid1(VALU_DEP_2)
	v_mov_b32_e32 v6, v16
	v_mad_u64_u32 v[13:14], null, s20, v21, s[20:21]
	v_mad_u64_u32 v[18:19], null, s21, v20, v[3:4]
	v_mov_b32_e32 v1, v14
	s_delay_alu instid0(VALU_DEP_2) | instskip(NEXT) | instid1(VALU_DEP_2)
	v_mov_b32_e32 v3, v18
	v_mad_u64_u32 v[19:20], null, s21, v21, v[1:2]
	v_mad_u64_u32 v[20:21], null, s21, v22, v[6:7]
	s_delay_alu instid0(VALU_DEP_3) | instskip(SKIP_1) | instid1(VALU_DEP_4)
	v_lshlrev_b64 v[2:3], 2, v[2:3]
	v_add_nc_u32_e32 v5, s5, v8
	v_dual_mov_b32 v1, v17 :: v_dual_mov_b32 v14, v19
	s_delay_alu instid0(VALU_DEP_4) | instskip(NEXT) | instid1(VALU_DEP_2)
	v_mov_b32_e32 v16, v20
	v_lshlrev_b64 v[0:1], 4, v[0:1]
	s_delay_alu instid0(VALU_DEP_4) | instskip(NEXT) | instid1(VALU_DEP_4)
	v_ashrrev_i32_e32 v6, 31, v5
	v_lshlrev_b64 v[19:20], 2, v[13:14]
	v_add_co_u32 v13, s3, s18, v2
	v_lshlrev_b64 v[15:16], 2, v[15:16]
	v_add_co_ci_u32_e64 v14, s3, s19, v3, s3
	v_lshlrev_b64 v[5:6], 2, v[5:6]
	s_delay_alu instid0(VALU_DEP_3) | instskip(NEXT) | instid1(VALU_DEP_1)
	v_add_co_u32 v15, s3, s18, v15
	v_add_co_ci_u32_e64 v16, s3, s19, v16, s3
	v_add_co_u32 v17, s3, s18, v0
	s_delay_alu instid0(VALU_DEP_1)
	v_add_co_ci_u32_e64 v18, s3, s19, v1, s3
	v_add_co_u32 v19, s3, s18, v19
	v_dual_mov_b32 v0, s8 :: v_dual_mov_b32 v1, s9
	v_add_co_ci_u32_e64 v20, s3, s19, v20, s3
	v_dual_mov_b32 v2, s10 :: v_dual_mov_b32 v3, s11
	s_lshl_b64 s[10:11], s[20:21], 8
	s_branch .LBB2_3
.LBB2_2:                                ;   in Loop: Header=BB2_3 Depth=1
	s_or_b32 exec_lo, exec_lo, s4
	v_add_co_u32 v13, s3, v13, s10
	s_delay_alu instid0(VALU_DEP_1) | instskip(SKIP_4) | instid1(VALU_DEP_1)
	v_add_co_ci_u32_e64 v14, s3, s11, v14, s3
	v_add_co_u32 v15, s3, v15, s10
	v_add_nc_u32_e32 v9, 64, v9
	v_add_co_ci_u32_e64 v16, s3, s11, v16, s3
	v_add_co_u32 v17, s3, v17, s10
	v_add_co_ci_u32_e64 v18, s3, s11, v18, s3
	s_delay_alu instid0(VALU_DEP_4) | instskip(SKIP_1) | instid1(VALU_DEP_1)
	v_cmp_le_i32_e64 s3, s13, v9
	v_add_co_u32 v19, s4, v19, s10
	v_add_co_ci_u32_e64 v20, s4, s11, v20, s4
	s_delay_alu instid0(VALU_DEP_3) | instskip(NEXT) | instid1(SALU_CYCLE_1)
	s_or_b32 s8, s3, s8
	s_and_not1_b32 exec_lo, exec_lo, s8
	s_cbranch_execz .LBB2_11
.LBB2_3:                                ; =>This Inner Loop Header: Depth=1
	s_and_saveexec_b32 s4, vcc_lo
	s_cbranch_execnz .LBB2_7
; %bb.4:                                ;   in Loop: Header=BB2_3 Depth=1
	s_or_b32 exec_lo, exec_lo, s4
	s_and_saveexec_b32 s4, s0
	s_cbranch_execnz .LBB2_8
.LBB2_5:                                ;   in Loop: Header=BB2_3 Depth=1
	s_or_b32 exec_lo, exec_lo, s4
	s_and_saveexec_b32 s4, s1
	s_cbranch_execnz .LBB2_9
.LBB2_6:                                ;   in Loop: Header=BB2_3 Depth=1
	s_or_b32 exec_lo, exec_lo, s4
	s_and_saveexec_b32 s4, s2
	s_cbranch_execz .LBB2_2
	s_branch .LBB2_10
.LBB2_7:                                ;   in Loop: Header=BB2_3 Depth=1
	v_add_co_u32 v21, s3, v17, v5
	s_delay_alu instid0(VALU_DEP_1) | instskip(SKIP_1) | instid1(VALU_DEP_1)
	v_add_co_ci_u32_e64 v22, s3, v18, v6, s3
	v_add_co_u32 v23, s3, v19, v5
	v_add_co_ci_u32_e64 v24, s3, v20, v6, s3
	global_load_b32 v25, v[21:22], off
	global_load_b32 v26, v[23:24], off
	v_add_co_u32 v21, s3, v13, v5
	s_delay_alu instid0(VALU_DEP_1) | instskip(SKIP_1) | instid1(VALU_DEP_1)
	v_add_co_ci_u32_e64 v22, s3, v14, v6, s3
	v_add_co_u32 v23, s3, v15, v5
	v_add_co_ci_u32_e64 v24, s3, v16, v6, s3
	global_load_b32 v21, v[21:22], off
	global_load_b32 v22, v[23:24], off
	s_waitcnt vmcnt(3)
	v_cmp_gt_f32_e64 s3, 0, v25
	s_delay_alu instid0(VALU_DEP_1) | instskip(SKIP_2) | instid1(VALU_DEP_1)
	v_cndmask_b32_e64 v23, v25, -v25, s3
	s_waitcnt vmcnt(2)
	v_cmp_gt_f32_e64 s3, 0, v26
	v_cndmask_b32_e64 v24, v26, -v26, s3
	s_waitcnt vmcnt(1)
	v_cmp_gt_f32_e64 s3, 0, v21
	s_delay_alu instid0(VALU_DEP_1) | instskip(SKIP_2) | instid1(VALU_DEP_1)
	v_cndmask_b32_e64 v21, v21, -v21, s3
	s_waitcnt lgkmcnt(0)
	v_cmp_lt_f32_e64 s3, s12, v23
	v_cndmask_b32_e64 v23, 0, 1, s3
	s_waitcnt vmcnt(0)
	v_cmp_gt_f32_e64 s3, 0, v22
	s_delay_alu instid0(VALU_DEP_1) | instskip(SKIP_1) | instid1(VALU_DEP_1)
	v_cndmask_b32_e64 v22, v22, -v22, s3
	v_cmp_lt_f32_e64 s3, s12, v24
	v_add_co_ci_u32_e64 v0, s3, v0, v23, s3
	v_cmp_lt_f32_e64 s3, s12, v21
	s_delay_alu instid0(VALU_DEP_1) | instskip(SKIP_1) | instid1(VALU_DEP_1)
	v_cndmask_b32_e64 v21, 0, 1, s3
	v_cmp_lt_f32_e64 s3, s12, v22
	v_add_co_ci_u32_e64 v0, s3, v0, v21, s3
	s_or_b32 exec_lo, exec_lo, s4
	s_and_saveexec_b32 s4, s0
	s_cbranch_execz .LBB2_5
.LBB2_8:                                ;   in Loop: Header=BB2_3 Depth=1
	v_add_co_u32 v21, s3, v17, v5
	s_delay_alu instid0(VALU_DEP_1) | instskip(SKIP_1) | instid1(VALU_DEP_1)
	v_add_co_ci_u32_e64 v22, s3, v18, v6, s3
	v_add_co_u32 v23, s3, v19, v5
	v_add_co_ci_u32_e64 v24, s3, v20, v6, s3
	global_load_b32 v25, v[21:22], off offset:256
	global_load_b32 v26, v[23:24], off offset:256
	v_add_co_u32 v21, s3, v13, v5
	s_delay_alu instid0(VALU_DEP_1) | instskip(SKIP_1) | instid1(VALU_DEP_1)
	v_add_co_ci_u32_e64 v22, s3, v14, v6, s3
	v_add_co_u32 v23, s3, v15, v5
	v_add_co_ci_u32_e64 v24, s3, v16, v6, s3
	global_load_b32 v21, v[21:22], off offset:256
	global_load_b32 v22, v[23:24], off offset:256
	s_waitcnt vmcnt(3)
	v_cmp_gt_f32_e64 s3, 0, v25
	s_delay_alu instid0(VALU_DEP_1) | instskip(SKIP_2) | instid1(VALU_DEP_1)
	v_cndmask_b32_e64 v23, v25, -v25, s3
	s_waitcnt vmcnt(2)
	v_cmp_gt_f32_e64 s3, 0, v26
	v_cndmask_b32_e64 v24, v26, -v26, s3
	s_waitcnt vmcnt(1)
	v_cmp_gt_f32_e64 s3, 0, v21
	s_delay_alu instid0(VALU_DEP_1) | instskip(SKIP_2) | instid1(VALU_DEP_1)
	v_cndmask_b32_e64 v21, v21, -v21, s3
	s_waitcnt lgkmcnt(0)
	v_cmp_lt_f32_e64 s3, s12, v23
	v_cndmask_b32_e64 v23, 0, 1, s3
	s_waitcnt vmcnt(0)
	v_cmp_gt_f32_e64 s3, 0, v22
	s_delay_alu instid0(VALU_DEP_1) | instskip(SKIP_1) | instid1(VALU_DEP_1)
	v_cndmask_b32_e64 v22, v22, -v22, s3
	v_cmp_lt_f32_e64 s3, s12, v24
	v_add_co_ci_u32_e64 v1, s3, v1, v23, s3
	v_cmp_lt_f32_e64 s3, s12, v21
	s_delay_alu instid0(VALU_DEP_1) | instskip(SKIP_1) | instid1(VALU_DEP_1)
	v_cndmask_b32_e64 v21, 0, 1, s3
	v_cmp_lt_f32_e64 s3, s12, v22
	v_add_co_ci_u32_e64 v1, s3, v1, v21, s3
	s_or_b32 exec_lo, exec_lo, s4
	s_and_saveexec_b32 s4, s1
	s_cbranch_execz .LBB2_6
.LBB2_9:                                ;   in Loop: Header=BB2_3 Depth=1
	v_add_co_u32 v21, s3, v17, v5
	s_delay_alu instid0(VALU_DEP_1) | instskip(SKIP_1) | instid1(VALU_DEP_1)
	v_add_co_ci_u32_e64 v22, s3, v18, v6, s3
	v_add_co_u32 v23, s3, v19, v5
	v_add_co_ci_u32_e64 v24, s3, v20, v6, s3
	global_load_b32 v25, v[21:22], off offset:512
	global_load_b32 v26, v[23:24], off offset:512
	v_add_co_u32 v21, s3, v13, v5
	s_delay_alu instid0(VALU_DEP_1) | instskip(SKIP_1) | instid1(VALU_DEP_1)
	v_add_co_ci_u32_e64 v22, s3, v14, v6, s3
	v_add_co_u32 v23, s3, v15, v5
	v_add_co_ci_u32_e64 v24, s3, v16, v6, s3
	global_load_b32 v21, v[21:22], off offset:512
	global_load_b32 v22, v[23:24], off offset:512
	s_waitcnt vmcnt(3)
	v_cmp_gt_f32_e64 s3, 0, v25
	s_delay_alu instid0(VALU_DEP_1) | instskip(SKIP_2) | instid1(VALU_DEP_1)
	v_cndmask_b32_e64 v23, v25, -v25, s3
	s_waitcnt vmcnt(2)
	v_cmp_gt_f32_e64 s3, 0, v26
	v_cndmask_b32_e64 v24, v26, -v26, s3
	s_waitcnt vmcnt(1)
	v_cmp_gt_f32_e64 s3, 0, v21
	s_delay_alu instid0(VALU_DEP_1) | instskip(SKIP_2) | instid1(VALU_DEP_1)
	v_cndmask_b32_e64 v21, v21, -v21, s3
	s_waitcnt lgkmcnt(0)
	v_cmp_lt_f32_e64 s3, s12, v23
	v_cndmask_b32_e64 v23, 0, 1, s3
	s_waitcnt vmcnt(0)
	v_cmp_gt_f32_e64 s3, 0, v22
	s_delay_alu instid0(VALU_DEP_1) | instskip(SKIP_1) | instid1(VALU_DEP_1)
	v_cndmask_b32_e64 v22, v22, -v22, s3
	v_cmp_lt_f32_e64 s3, s12, v24
	v_add_co_ci_u32_e64 v2, s3, v2, v23, s3
	v_cmp_lt_f32_e64 s3, s12, v21
	s_delay_alu instid0(VALU_DEP_1) | instskip(SKIP_1) | instid1(VALU_DEP_1)
	v_cndmask_b32_e64 v21, 0, 1, s3
	v_cmp_lt_f32_e64 s3, s12, v22
	v_add_co_ci_u32_e64 v2, s3, v2, v21, s3
	s_or_b32 exec_lo, exec_lo, s4
	s_and_saveexec_b32 s4, s2
	s_cbranch_execz .LBB2_2
.LBB2_10:                               ;   in Loop: Header=BB2_3 Depth=1
	v_add_co_u32 v21, s3, v17, v5
	s_delay_alu instid0(VALU_DEP_1) | instskip(SKIP_1) | instid1(VALU_DEP_1)
	v_add_co_ci_u32_e64 v22, s3, v18, v6, s3
	v_add_co_u32 v23, s3, v19, v5
	v_add_co_ci_u32_e64 v24, s3, v20, v6, s3
	global_load_b32 v25, v[21:22], off offset:768
	global_load_b32 v26, v[23:24], off offset:768
	v_add_co_u32 v21, s3, v13, v5
	s_delay_alu instid0(VALU_DEP_1) | instskip(SKIP_1) | instid1(VALU_DEP_1)
	v_add_co_ci_u32_e64 v22, s3, v14, v6, s3
	v_add_co_u32 v23, s3, v15, v5
	v_add_co_ci_u32_e64 v24, s3, v16, v6, s3
	global_load_b32 v21, v[21:22], off offset:768
	global_load_b32 v22, v[23:24], off offset:768
	s_waitcnt vmcnt(3)
	v_cmp_gt_f32_e64 s3, 0, v25
	s_delay_alu instid0(VALU_DEP_1) | instskip(SKIP_2) | instid1(VALU_DEP_1)
	v_cndmask_b32_e64 v23, v25, -v25, s3
	s_waitcnt vmcnt(2)
	v_cmp_gt_f32_e64 s3, 0, v26
	v_cndmask_b32_e64 v24, v26, -v26, s3
	s_waitcnt vmcnt(1)
	v_cmp_gt_f32_e64 s3, 0, v21
	s_delay_alu instid0(VALU_DEP_1) | instskip(SKIP_2) | instid1(VALU_DEP_1)
	v_cndmask_b32_e64 v21, v21, -v21, s3
	s_waitcnt lgkmcnt(0)
	v_cmp_lt_f32_e64 s3, s12, v23
	v_cndmask_b32_e64 v23, 0, 1, s3
	s_waitcnt vmcnt(0)
	v_cmp_gt_f32_e64 s3, 0, v22
	s_delay_alu instid0(VALU_DEP_1) | instskip(SKIP_1) | instid1(VALU_DEP_1)
	v_cndmask_b32_e64 v22, v22, -v22, s3
	v_cmp_lt_f32_e64 s3, s12, v24
	v_add_co_ci_u32_e64 v3, s3, v3, v23, s3
	v_cmp_lt_f32_e64 s3, s12, v21
	s_delay_alu instid0(VALU_DEP_1) | instskip(SKIP_1) | instid1(VALU_DEP_1)
	v_cndmask_b32_e64 v21, 0, 1, s3
	v_cmp_lt_f32_e64 s3, s12, v22
	v_add_co_ci_u32_e64 v3, s3, v3, v21, s3
	s_branch .LBB2_2
.LBB2_11:
	s_or_b32 exec_lo, exec_lo, s8
.LBB2_12:
	s_delay_alu instid0(SALU_CYCLE_1) | instskip(SKIP_1) | instid1(SALU_CYCLE_1)
	s_or_b32 exec_lo, exec_lo, s14
	s_sub_i32 s0, s17, s13
	s_cmp_lt_i32 s0, 1
	s_cbranch_scc1 .LBB2_54
; %bb.13:
	v_ashrrev_i32_e32 v5, 31, v4
	s_mov_b32 s0, exec_lo
	v_cmpx_gt_i32_e64 s16, v4
	s_cbranch_execnz .LBB2_17
; %bb.14:
	s_or_b32 exec_lo, exec_lo, s0
	s_delay_alu instid0(SALU_CYCLE_1)
	s_mov_b32 s0, exec_lo
	v_cmpx_gt_i32_e64 s16, v12
	s_cbranch_execnz .LBB2_26
.LBB2_15:
	s_or_b32 exec_lo, exec_lo, s0
	s_delay_alu instid0(SALU_CYCLE_1)
	s_mov_b32 s0, exec_lo
	v_cmpx_gt_i32_e64 s16, v11
	s_cbranch_execnz .LBB2_35
.LBB2_16:
	s_or_b32 exec_lo, exec_lo, s0
	s_delay_alu instid0(SALU_CYCLE_1)
	s_mov_b32 s0, exec_lo
	v_cmpx_gt_i32_e64 s16, v10
	s_cbranch_execnz .LBB2_44
	s_branch .LBB2_53
.LBB2_17:
	s_delay_alu instid0(VALU_DEP_2) | instskip(SKIP_1) | instid1(VALU_DEP_1)
	v_lshlrev_b64 v[13:14], 2, v[4:5]
	s_mov_b32 s1, exec_lo
	v_add_co_u32 v6, vcc_lo, s18, v13
	s_delay_alu instid0(VALU_DEP_2)
	v_add_co_ci_u32_e32 v13, vcc_lo, s19, v14, vcc_lo
	v_cmpx_gt_i32_e64 s17, v9
	s_cbranch_execz .LBB2_19
; %bb.18:
	v_mad_u64_u32 v[14:15], null, v9, s20, 0
	s_delay_alu instid0(VALU_DEP_1) | instskip(NEXT) | instid1(VALU_DEP_1)
	v_mad_u64_u32 v[16:17], null, v9, s21, v[15:16]
	v_mov_b32_e32 v15, v16
	s_delay_alu instid0(VALU_DEP_1) | instskip(NEXT) | instid1(VALU_DEP_1)
	v_lshlrev_b64 v[14:15], 2, v[14:15]
	v_add_co_u32 v14, vcc_lo, v6, v14
	s_delay_alu instid0(VALU_DEP_2)
	v_add_co_ci_u32_e32 v15, vcc_lo, v13, v15, vcc_lo
	global_load_b32 v14, v[14:15], off
	s_waitcnt vmcnt(0)
	v_cmp_gt_f32_e32 vcc_lo, 0, v14
	v_cndmask_b32_e64 v14, v14, -v14, vcc_lo
	s_waitcnt lgkmcnt(0)
	s_delay_alu instid0(VALU_DEP_1)
	v_cmp_lt_f32_e32 vcc_lo, s12, v14
	v_add_co_ci_u32_e32 v0, vcc_lo, 0, v0, vcc_lo
.LBB2_19:
	s_or_b32 exec_lo, exec_lo, s1
	v_or_b32_e32 v14, 1, v9
	s_mov_b32 s1, exec_lo
	s_delay_alu instid0(VALU_DEP_1)
	v_cmpx_gt_i32_e64 s17, v14
	s_cbranch_execz .LBB2_21
; %bb.20:
	v_mad_u64_u32 v[15:16], null, v14, s20, 0
	s_delay_alu instid0(VALU_DEP_1) | instskip(NEXT) | instid1(VALU_DEP_1)
	v_mad_u64_u32 v[17:18], null, v14, s21, v[16:17]
	v_mov_b32_e32 v16, v17
	s_delay_alu instid0(VALU_DEP_1) | instskip(NEXT) | instid1(VALU_DEP_1)
	v_lshlrev_b64 v[14:15], 2, v[15:16]
	v_add_co_u32 v14, vcc_lo, v6, v14
	s_delay_alu instid0(VALU_DEP_2)
	v_add_co_ci_u32_e32 v15, vcc_lo, v13, v15, vcc_lo
	global_load_b32 v14, v[14:15], off
	s_waitcnt vmcnt(0)
	v_cmp_gt_f32_e32 vcc_lo, 0, v14
	v_cndmask_b32_e64 v14, v14, -v14, vcc_lo
	s_waitcnt lgkmcnt(0)
	s_delay_alu instid0(VALU_DEP_1)
	v_cmp_lt_f32_e32 vcc_lo, s12, v14
	v_add_co_ci_u32_e32 v0, vcc_lo, 0, v0, vcc_lo
.LBB2_21:
	s_or_b32 exec_lo, exec_lo, s1
	v_or_b32_e32 v14, 2, v9
	s_mov_b32 s1, exec_lo
	s_delay_alu instid0(VALU_DEP_1)
	;; [unrolled: 25-line block ×3, first 2 shown]
	v_cmpx_gt_i32_e64 s17, v14
	s_cbranch_execz .LBB2_25
; %bb.24:
	v_mad_u64_u32 v[15:16], null, v14, s20, 0
	s_delay_alu instid0(VALU_DEP_1) | instskip(NEXT) | instid1(VALU_DEP_1)
	v_mad_u64_u32 v[17:18], null, v14, s21, v[16:17]
	v_mov_b32_e32 v16, v17
	s_delay_alu instid0(VALU_DEP_1) | instskip(NEXT) | instid1(VALU_DEP_1)
	v_lshlrev_b64 v[14:15], 2, v[15:16]
	v_add_co_u32 v14, vcc_lo, v6, v14
	s_delay_alu instid0(VALU_DEP_2)
	v_add_co_ci_u32_e32 v15, vcc_lo, v13, v15, vcc_lo
	global_load_b32 v6, v[14:15], off
	s_waitcnt vmcnt(0)
	v_cmp_gt_f32_e32 vcc_lo, 0, v6
	v_cndmask_b32_e64 v6, v6, -v6, vcc_lo
	s_waitcnt lgkmcnt(0)
	s_delay_alu instid0(VALU_DEP_1)
	v_cmp_lt_f32_e32 vcc_lo, s12, v6
	v_add_co_ci_u32_e32 v0, vcc_lo, 0, v0, vcc_lo
.LBB2_25:
	s_or_b32 exec_lo, exec_lo, s1
	s_delay_alu instid0(SALU_CYCLE_1) | instskip(NEXT) | instid1(SALU_CYCLE_1)
	s_or_b32 exec_lo, exec_lo, s0
	s_mov_b32 s0, exec_lo
	v_cmpx_gt_i32_e64 s16, v12
	s_cbranch_execz .LBB2_15
.LBB2_26:
	v_lshlrev_b64 v[12:13], 2, v[4:5]
	s_mov_b32 s1, exec_lo
	s_delay_alu instid0(VALU_DEP_1) | instskip(NEXT) | instid1(VALU_DEP_2)
	v_add_co_u32 v6, vcc_lo, s18, v12
	v_add_co_ci_u32_e32 v12, vcc_lo, s19, v13, vcc_lo
	v_cmpx_gt_i32_e64 s17, v9
	s_cbranch_execz .LBB2_28
; %bb.27:
	v_mad_u64_u32 v[13:14], null, v9, s20, 0
	s_delay_alu instid0(VALU_DEP_1) | instskip(NEXT) | instid1(VALU_DEP_1)
	v_mad_u64_u32 v[15:16], null, v9, s21, v[14:15]
	v_mov_b32_e32 v14, v15
	s_delay_alu instid0(VALU_DEP_1) | instskip(NEXT) | instid1(VALU_DEP_1)
	v_lshlrev_b64 v[13:14], 2, v[13:14]
	v_add_co_u32 v13, vcc_lo, v6, v13
	s_delay_alu instid0(VALU_DEP_2)
	v_add_co_ci_u32_e32 v14, vcc_lo, v12, v14, vcc_lo
	global_load_b32 v13, v[13:14], off offset:256
	s_waitcnt vmcnt(0)
	v_cmp_gt_f32_e32 vcc_lo, 0, v13
	v_cndmask_b32_e64 v13, v13, -v13, vcc_lo
	s_waitcnt lgkmcnt(0)
	s_delay_alu instid0(VALU_DEP_1)
	v_cmp_lt_f32_e32 vcc_lo, s12, v13
	v_add_co_ci_u32_e32 v1, vcc_lo, 0, v1, vcc_lo
.LBB2_28:
	s_or_b32 exec_lo, exec_lo, s1
	v_or_b32_e32 v13, 1, v9
	s_mov_b32 s1, exec_lo
	s_delay_alu instid0(VALU_DEP_1)
	v_cmpx_gt_i32_e64 s17, v13
	s_cbranch_execz .LBB2_30
; %bb.29:
	v_mad_u64_u32 v[14:15], null, v13, s20, 0
	s_delay_alu instid0(VALU_DEP_1) | instskip(NEXT) | instid1(VALU_DEP_1)
	v_mad_u64_u32 v[16:17], null, v13, s21, v[15:16]
	v_mov_b32_e32 v15, v16
	s_delay_alu instid0(VALU_DEP_1) | instskip(NEXT) | instid1(VALU_DEP_1)
	v_lshlrev_b64 v[13:14], 2, v[14:15]
	v_add_co_u32 v13, vcc_lo, v6, v13
	s_delay_alu instid0(VALU_DEP_2)
	v_add_co_ci_u32_e32 v14, vcc_lo, v12, v14, vcc_lo
	global_load_b32 v13, v[13:14], off offset:256
	s_waitcnt vmcnt(0)
	v_cmp_gt_f32_e32 vcc_lo, 0, v13
	v_cndmask_b32_e64 v13, v13, -v13, vcc_lo
	s_waitcnt lgkmcnt(0)
	s_delay_alu instid0(VALU_DEP_1)
	v_cmp_lt_f32_e32 vcc_lo, s12, v13
	v_add_co_ci_u32_e32 v1, vcc_lo, 0, v1, vcc_lo
.LBB2_30:
	s_or_b32 exec_lo, exec_lo, s1
	v_or_b32_e32 v13, 2, v9
	s_mov_b32 s1, exec_lo
	s_delay_alu instid0(VALU_DEP_1)
	;; [unrolled: 25-line block ×3, first 2 shown]
	v_cmpx_gt_i32_e64 s17, v13
	s_cbranch_execz .LBB2_34
; %bb.33:
	v_mad_u64_u32 v[14:15], null, v13, s20, 0
	s_delay_alu instid0(VALU_DEP_1) | instskip(NEXT) | instid1(VALU_DEP_1)
	v_mad_u64_u32 v[16:17], null, v13, s21, v[15:16]
	v_mov_b32_e32 v15, v16
	s_delay_alu instid0(VALU_DEP_1) | instskip(NEXT) | instid1(VALU_DEP_1)
	v_lshlrev_b64 v[13:14], 2, v[14:15]
	v_add_co_u32 v13, vcc_lo, v6, v13
	s_delay_alu instid0(VALU_DEP_2)
	v_add_co_ci_u32_e32 v14, vcc_lo, v12, v14, vcc_lo
	global_load_b32 v6, v[13:14], off offset:256
	s_waitcnt vmcnt(0)
	v_cmp_gt_f32_e32 vcc_lo, 0, v6
	v_cndmask_b32_e64 v6, v6, -v6, vcc_lo
	s_waitcnt lgkmcnt(0)
	s_delay_alu instid0(VALU_DEP_1)
	v_cmp_lt_f32_e32 vcc_lo, s12, v6
	v_add_co_ci_u32_e32 v1, vcc_lo, 0, v1, vcc_lo
.LBB2_34:
	s_or_b32 exec_lo, exec_lo, s1
	s_delay_alu instid0(SALU_CYCLE_1) | instskip(NEXT) | instid1(SALU_CYCLE_1)
	s_or_b32 exec_lo, exec_lo, s0
	s_mov_b32 s0, exec_lo
	v_cmpx_gt_i32_e64 s16, v11
	s_cbranch_execz .LBB2_16
.LBB2_35:
	v_lshlrev_b64 v[11:12], 2, v[4:5]
	s_mov_b32 s1, exec_lo
	s_delay_alu instid0(VALU_DEP_1) | instskip(NEXT) | instid1(VALU_DEP_2)
	v_add_co_u32 v6, vcc_lo, s18, v11
	v_add_co_ci_u32_e32 v11, vcc_lo, s19, v12, vcc_lo
	v_cmpx_gt_i32_e64 s17, v9
	s_cbranch_execz .LBB2_37
; %bb.36:
	v_mad_u64_u32 v[12:13], null, v9, s20, 0
	s_delay_alu instid0(VALU_DEP_1) | instskip(NEXT) | instid1(VALU_DEP_1)
	v_mad_u64_u32 v[14:15], null, v9, s21, v[13:14]
	v_mov_b32_e32 v13, v14
	s_delay_alu instid0(VALU_DEP_1) | instskip(NEXT) | instid1(VALU_DEP_1)
	v_lshlrev_b64 v[12:13], 2, v[12:13]
	v_add_co_u32 v12, vcc_lo, v6, v12
	s_delay_alu instid0(VALU_DEP_2)
	v_add_co_ci_u32_e32 v13, vcc_lo, v11, v13, vcc_lo
	global_load_b32 v12, v[12:13], off offset:512
	s_waitcnt vmcnt(0)
	v_cmp_gt_f32_e32 vcc_lo, 0, v12
	v_cndmask_b32_e64 v12, v12, -v12, vcc_lo
	s_waitcnt lgkmcnt(0)
	s_delay_alu instid0(VALU_DEP_1)
	v_cmp_lt_f32_e32 vcc_lo, s12, v12
	v_add_co_ci_u32_e32 v2, vcc_lo, 0, v2, vcc_lo
.LBB2_37:
	s_or_b32 exec_lo, exec_lo, s1
	v_or_b32_e32 v12, 1, v9
	s_mov_b32 s1, exec_lo
	s_delay_alu instid0(VALU_DEP_1)
	v_cmpx_gt_i32_e64 s17, v12
	s_cbranch_execz .LBB2_39
; %bb.38:
	v_mad_u64_u32 v[13:14], null, v12, s20, 0
	s_delay_alu instid0(VALU_DEP_1) | instskip(NEXT) | instid1(VALU_DEP_1)
	v_mad_u64_u32 v[15:16], null, v12, s21, v[14:15]
	v_mov_b32_e32 v14, v15
	s_delay_alu instid0(VALU_DEP_1) | instskip(NEXT) | instid1(VALU_DEP_1)
	v_lshlrev_b64 v[12:13], 2, v[13:14]
	v_add_co_u32 v12, vcc_lo, v6, v12
	s_delay_alu instid0(VALU_DEP_2)
	v_add_co_ci_u32_e32 v13, vcc_lo, v11, v13, vcc_lo
	global_load_b32 v12, v[12:13], off offset:512
	s_waitcnt vmcnt(0)
	v_cmp_gt_f32_e32 vcc_lo, 0, v12
	v_cndmask_b32_e64 v12, v12, -v12, vcc_lo
	s_waitcnt lgkmcnt(0)
	s_delay_alu instid0(VALU_DEP_1)
	v_cmp_lt_f32_e32 vcc_lo, s12, v12
	v_add_co_ci_u32_e32 v2, vcc_lo, 0, v2, vcc_lo
.LBB2_39:
	s_or_b32 exec_lo, exec_lo, s1
	v_or_b32_e32 v12, 2, v9
	s_mov_b32 s1, exec_lo
	s_delay_alu instid0(VALU_DEP_1)
	;; [unrolled: 25-line block ×3, first 2 shown]
	v_cmpx_gt_i32_e64 s17, v12
	s_cbranch_execz .LBB2_43
; %bb.42:
	v_mad_u64_u32 v[13:14], null, v12, s20, 0
	s_delay_alu instid0(VALU_DEP_1) | instskip(NEXT) | instid1(VALU_DEP_1)
	v_mad_u64_u32 v[15:16], null, v12, s21, v[14:15]
	v_mov_b32_e32 v14, v15
	s_delay_alu instid0(VALU_DEP_1) | instskip(NEXT) | instid1(VALU_DEP_1)
	v_lshlrev_b64 v[12:13], 2, v[13:14]
	v_add_co_u32 v12, vcc_lo, v6, v12
	s_delay_alu instid0(VALU_DEP_2)
	v_add_co_ci_u32_e32 v13, vcc_lo, v11, v13, vcc_lo
	global_load_b32 v6, v[12:13], off offset:512
	s_waitcnt vmcnt(0)
	v_cmp_gt_f32_e32 vcc_lo, 0, v6
	v_cndmask_b32_e64 v6, v6, -v6, vcc_lo
	s_waitcnt lgkmcnt(0)
	s_delay_alu instid0(VALU_DEP_1)
	v_cmp_lt_f32_e32 vcc_lo, s12, v6
	v_add_co_ci_u32_e32 v2, vcc_lo, 0, v2, vcc_lo
.LBB2_43:
	s_or_b32 exec_lo, exec_lo, s1
	s_delay_alu instid0(SALU_CYCLE_1) | instskip(NEXT) | instid1(SALU_CYCLE_1)
	s_or_b32 exec_lo, exec_lo, s0
	s_mov_b32 s0, exec_lo
	v_cmpx_gt_i32_e64 s16, v10
	s_cbranch_execz .LBB2_53
.LBB2_44:
	v_lshlrev_b64 v[4:5], 2, v[4:5]
	s_mov_b32 s1, exec_lo
	s_delay_alu instid0(VALU_DEP_1) | instskip(NEXT) | instid1(VALU_DEP_2)
	v_add_co_u32 v4, vcc_lo, s18, v4
	v_add_co_ci_u32_e32 v5, vcc_lo, s19, v5, vcc_lo
	v_cmpx_gt_i32_e64 s17, v9
	s_cbranch_execz .LBB2_46
; %bb.45:
	v_mad_u64_u32 v[10:11], null, v9, s20, 0
	s_delay_alu instid0(VALU_DEP_1) | instskip(NEXT) | instid1(VALU_DEP_1)
	v_mov_b32_e32 v6, v11
	v_mad_u64_u32 v[11:12], null, v9, s21, v[6:7]
	s_delay_alu instid0(VALU_DEP_1) | instskip(NEXT) | instid1(VALU_DEP_1)
	v_lshlrev_b64 v[10:11], 2, v[10:11]
	v_add_co_u32 v10, vcc_lo, v4, v10
	s_delay_alu instid0(VALU_DEP_2)
	v_add_co_ci_u32_e32 v11, vcc_lo, v5, v11, vcc_lo
	global_load_b32 v6, v[10:11], off offset:768
	s_waitcnt vmcnt(0)
	v_cmp_gt_f32_e32 vcc_lo, 0, v6
	v_cndmask_b32_e64 v6, v6, -v6, vcc_lo
	s_waitcnt lgkmcnt(0)
	s_delay_alu instid0(VALU_DEP_1)
	v_cmp_lt_f32_e32 vcc_lo, s12, v6
	v_add_co_ci_u32_e32 v3, vcc_lo, 0, v3, vcc_lo
.LBB2_46:
	s_or_b32 exec_lo, exec_lo, s1
	v_or_b32_e32 v6, 1, v9
	s_mov_b32 s1, exec_lo
	s_delay_alu instid0(VALU_DEP_1)
	v_cmpx_gt_i32_e64 s17, v6
	s_cbranch_execz .LBB2_48
; %bb.47:
	v_mad_u64_u32 v[10:11], null, v6, s20, 0
	s_delay_alu instid0(VALU_DEP_1) | instskip(NEXT) | instid1(VALU_DEP_1)
	v_mad_u64_u32 v[12:13], null, v6, s21, v[11:12]
	v_mov_b32_e32 v11, v12
	s_delay_alu instid0(VALU_DEP_1) | instskip(NEXT) | instid1(VALU_DEP_1)
	v_lshlrev_b64 v[10:11], 2, v[10:11]
	v_add_co_u32 v10, vcc_lo, v4, v10
	s_delay_alu instid0(VALU_DEP_2)
	v_add_co_ci_u32_e32 v11, vcc_lo, v5, v11, vcc_lo
	global_load_b32 v6, v[10:11], off offset:768
	s_waitcnt vmcnt(0)
	v_cmp_gt_f32_e32 vcc_lo, 0, v6
	v_cndmask_b32_e64 v6, v6, -v6, vcc_lo
	s_waitcnt lgkmcnt(0)
	s_delay_alu instid0(VALU_DEP_1)
	v_cmp_lt_f32_e32 vcc_lo, s12, v6
	v_add_co_ci_u32_e32 v3, vcc_lo, 0, v3, vcc_lo
.LBB2_48:
	s_or_b32 exec_lo, exec_lo, s1
	v_or_b32_e32 v6, 2, v9
	s_mov_b32 s1, exec_lo
	s_delay_alu instid0(VALU_DEP_1)
	v_cmpx_gt_i32_e64 s17, v6
	s_cbranch_execz .LBB2_50
; %bb.49:
	v_mad_u64_u32 v[10:11], null, v6, s20, 0
	s_delay_alu instid0(VALU_DEP_1) | instskip(NEXT) | instid1(VALU_DEP_1)
	v_mad_u64_u32 v[12:13], null, v6, s21, v[11:12]
	v_mov_b32_e32 v11, v12
	s_delay_alu instid0(VALU_DEP_1) | instskip(NEXT) | instid1(VALU_DEP_1)
	v_lshlrev_b64 v[10:11], 2, v[10:11]
	v_add_co_u32 v10, vcc_lo, v4, v10
	s_delay_alu instid0(VALU_DEP_2)
	v_add_co_ci_u32_e32 v11, vcc_lo, v5, v11, vcc_lo
	global_load_b32 v6, v[10:11], off offset:768
	s_waitcnt vmcnt(0)
	v_cmp_gt_f32_e32 vcc_lo, 0, v6
	v_cndmask_b32_e64 v6, v6, -v6, vcc_lo
	s_waitcnt lgkmcnt(0)
	s_delay_alu instid0(VALU_DEP_1)
	v_cmp_lt_f32_e32 vcc_lo, s12, v6
	v_add_co_ci_u32_e32 v3, vcc_lo, 0, v3, vcc_lo
.LBB2_50:
	;; [unrolled: 25-line block ×3, first 2 shown]
	s_or_b32 exec_lo, exec_lo, s1
.LBB2_53:
	s_delay_alu instid0(SALU_CYCLE_1)
	s_or_b32 exec_lo, exec_lo, s0
.LBB2_54:
	v_lshlrev_b32_e32 v4, 2, v7
	s_mov_b32 s0, exec_lo
	s_delay_alu instid0(VALU_DEP_1) | instskip(NEXT) | instid1(VALU_DEP_1)
	v_and_or_b32 v5, 0x1fffff00, v4, v8
	v_lshlrev_b32_e32 v5, 2, v5
	ds_store_2addr_stride64_b32 v5, v0, v1 offset1:1
	ds_store_2addr_stride64_b32 v5, v2, v3 offset0:2 offset1:3
	s_waitcnt lgkmcnt(0)
	s_barrier
	buffer_gl0_inv
	v_cmpx_gt_u32_e32 0x100, v7
	s_cbranch_execz .LBB2_57
; %bb.55:
	ds_load_2addr_stride64_b32 v[0:1], v4 offset1:4
	ds_load_2addr_stride64_b32 v[2:3], v4 offset0:8 offset1:12
	ds_load_2addr_stride64_b32 v[5:6], v4 offset0:16 offset1:20
	;; [unrolled: 1-line block ×3, first 2 shown]
	s_waitcnt lgkmcnt(3)
	v_add_nc_u32_e32 v10, v1, v0
	ds_load_2addr_stride64_b32 v[0:1], v4 offset0:32 offset1:36
	s_waitcnt lgkmcnt(3)
	v_add3_u32 v10, v10, v2, v3
	ds_load_2addr_stride64_b32 v[2:3], v4 offset0:40 offset1:44
	s_waitcnt lgkmcnt(3)
	v_add3_u32 v10, v10, v5, v6
	;; [unrolled: 3-line block ×4, first 2 shown]
	s_waitcnt lgkmcnt(2)
	s_delay_alu instid0(VALU_DEP_1) | instskip(SKIP_1) | instid1(VALU_DEP_1)
	v_add3_u32 v0, v0, v2, v3
	s_waitcnt lgkmcnt(1)
	v_add3_u32 v1, v0, v5, v6
	v_or_b32_e32 v0, s5, v7
	s_waitcnt lgkmcnt(0)
	s_delay_alu instid0(VALU_DEP_2) | instskip(NEXT) | instid1(VALU_DEP_2)
	v_add3_u32 v2, v1, v8, v9
	v_cmp_gt_i32_e32 vcc_lo, s16, v0
	ds_store_b32 v4, v2
	s_and_b32 exec_lo, exec_lo, vcc_lo
	s_cbranch_execz .LBB2_57
; %bb.56:
	v_ashrrev_i32_e32 v1, 31, v0
	s_delay_alu instid0(VALU_DEP_1) | instskip(NEXT) | instid1(VALU_DEP_1)
	v_lshlrev_b64 v[0:1], 2, v[0:1]
	v_add_co_u32 v0, vcc_lo, s6, v0
	s_delay_alu instid0(VALU_DEP_2)
	v_add_co_ci_u32_e32 v1, vcc_lo, s7, v1, vcc_lo
	global_store_b32 v[0:1], v2, off
.LBB2_57:
	s_nop 0
	s_sendmsg sendmsg(MSG_DEALLOC_VGPRS)
	s_endpgm
	.section	.rodata,"a",@progbits
	.p2align	6, 0x0
	.amdhsa_kernel _ZN9rocsparseL27prune_dense2csr_nnz_kernel2ILi64ELi16EfEEviiPKT1_lS3_Pi
		.amdhsa_group_segment_fixed_size 16384
		.amdhsa_private_segment_fixed_size 0
		.amdhsa_kernarg_size 296
		.amdhsa_user_sgpr_count 15
		.amdhsa_user_sgpr_dispatch_ptr 0
		.amdhsa_user_sgpr_queue_ptr 0
		.amdhsa_user_sgpr_kernarg_segment_ptr 1
		.amdhsa_user_sgpr_dispatch_id 0
		.amdhsa_user_sgpr_private_segment_size 0
		.amdhsa_wavefront_size32 1
		.amdhsa_uses_dynamic_stack 0
		.amdhsa_enable_private_segment 0
		.amdhsa_system_sgpr_workgroup_id_x 1
		.amdhsa_system_sgpr_workgroup_id_y 0
		.amdhsa_system_sgpr_workgroup_id_z 0
		.amdhsa_system_sgpr_workgroup_info 0
		.amdhsa_system_vgpr_workitem_id 1
		.amdhsa_next_free_vgpr 27
		.amdhsa_next_free_sgpr 24
		.amdhsa_reserve_vcc 1
		.amdhsa_float_round_mode_32 0
		.amdhsa_float_round_mode_16_64 0
		.amdhsa_float_denorm_mode_32 3
		.amdhsa_float_denorm_mode_16_64 3
		.amdhsa_dx10_clamp 1
		.amdhsa_ieee_mode 1
		.amdhsa_fp16_overflow 0
		.amdhsa_workgroup_processor_mode 1
		.amdhsa_memory_ordered 1
		.amdhsa_forward_progress 0
		.amdhsa_shared_vgpr_count 0
		.amdhsa_exception_fp_ieee_invalid_op 0
		.amdhsa_exception_fp_denorm_src 0
		.amdhsa_exception_fp_ieee_div_zero 0
		.amdhsa_exception_fp_ieee_overflow 0
		.amdhsa_exception_fp_ieee_underflow 0
		.amdhsa_exception_fp_ieee_inexact 0
		.amdhsa_exception_int_div_zero 0
	.end_amdhsa_kernel
	.section	.text._ZN9rocsparseL27prune_dense2csr_nnz_kernel2ILi64ELi16EfEEviiPKT1_lS3_Pi,"axG",@progbits,_ZN9rocsparseL27prune_dense2csr_nnz_kernel2ILi64ELi16EfEEviiPKT1_lS3_Pi,comdat
.Lfunc_end2:
	.size	_ZN9rocsparseL27prune_dense2csr_nnz_kernel2ILi64ELi16EfEEviiPKT1_lS3_Pi, .Lfunc_end2-_ZN9rocsparseL27prune_dense2csr_nnz_kernel2ILi64ELi16EfEEviiPKT1_lS3_Pi
                                        ; -- End function
	.section	.AMDGPU.csdata,"",@progbits
; Kernel info:
; codeLenInByte = 4260
; NumSgprs: 26
; NumVgprs: 27
; ScratchSize: 0
; MemoryBound: 0
; FloatMode: 240
; IeeeMode: 1
; LDSByteSize: 16384 bytes/workgroup (compile time only)
; SGPRBlocks: 3
; VGPRBlocks: 3
; NumSGPRsForWavesPerEU: 26
; NumVGPRsForWavesPerEU: 27
; Occupancy: 16
; WaveLimiterHint : 0
; COMPUTE_PGM_RSRC2:SCRATCH_EN: 0
; COMPUTE_PGM_RSRC2:USER_SGPR: 15
; COMPUTE_PGM_RSRC2:TRAP_HANDLER: 0
; COMPUTE_PGM_RSRC2:TGID_X_EN: 1
; COMPUTE_PGM_RSRC2:TGID_Y_EN: 0
; COMPUTE_PGM_RSRC2:TGID_Z_EN: 0
; COMPUTE_PGM_RSRC2:TIDIG_COMP_CNT: 1
	.section	.text._ZN9rocsparseL10abs_kernelILi256EdEEviiPKT0_lPS1_,"axG",@progbits,_ZN9rocsparseL10abs_kernelILi256EdEEviiPKT0_lPS1_,comdat
	.globl	_ZN9rocsparseL10abs_kernelILi256EdEEviiPKT0_lPS1_ ; -- Begin function _ZN9rocsparseL10abs_kernelILi256EdEEviiPKT0_lPS1_
	.p2align	8
	.type	_ZN9rocsparseL10abs_kernelILi256EdEEviiPKT0_lPS1_,@function
_ZN9rocsparseL10abs_kernelILi256EdEEviiPKT0_lPS1_: ; @_ZN9rocsparseL10abs_kernelILi256EdEEviiPKT0_lPS1_
; %bb.0:
	s_load_b64 s[2:3], s[0:1], 0x0
	v_lshl_or_b32 v0, s15, 8, v0
	s_waitcnt lgkmcnt(0)
	s_mul_i32 s3, s3, s2
	s_delay_alu instid0(VALU_DEP_1) | instid1(SALU_CYCLE_1)
	v_cmp_gt_i32_e32 vcc_lo, s3, v0
	s_and_saveexec_b32 s3, vcc_lo
	s_cbranch_execz .LBB3_2
; %bb.1:
	s_abs_i32 s3, s2
	v_sub_nc_u32_e32 v3, 0, v0
	v_cvt_f32_u32_e32 v1, s3
	s_sub_i32 s4, 0, s3
	s_delay_alu instid0(VALU_DEP_2) | instskip(NEXT) | instid1(VALU_DEP_2)
	v_max_i32_e32 v3, v0, v3
	v_rcp_iflag_f32_e32 v1, v1
	s_waitcnt_depctr 0xfff
	v_mul_f32_e32 v1, 0x4f7ffffe, v1
	s_delay_alu instid0(VALU_DEP_1) | instskip(NEXT) | instid1(VALU_DEP_1)
	v_cvt_u32_f32_e32 v1, v1
	v_mul_lo_u32 v2, s4, v1
	s_clause 0x1
	s_load_b128 s[4:7], s[0:1], 0x8
	s_load_b64 s[0:1], s[0:1], 0x18
	s_delay_alu instid0(VALU_DEP_1) | instskip(NEXT) | instid1(VALU_DEP_1)
	v_mul_hi_u32 v2, v1, v2
	v_add_nc_u32_e32 v1, v1, v2
	s_delay_alu instid0(VALU_DEP_1) | instskip(NEXT) | instid1(VALU_DEP_1)
	v_mul_hi_u32 v1, v3, v1
	v_mul_lo_u32 v2, v1, s3
	s_delay_alu instid0(VALU_DEP_1) | instskip(SKIP_1) | instid1(VALU_DEP_2)
	v_sub_nc_u32_e32 v2, v3, v2
	v_add_nc_u32_e32 v3, 1, v1
	v_subrev_nc_u32_e32 v4, s3, v2
	v_cmp_le_u32_e32 vcc_lo, s3, v2
	s_delay_alu instid0(VALU_DEP_2) | instskip(SKIP_1) | instid1(VALU_DEP_2)
	v_dual_cndmask_b32 v1, v1, v3 :: v_dual_cndmask_b32 v2, v2, v4
	v_xor_b32_e32 v3, s2, v0
	v_add_nc_u32_e32 v4, 1, v1
	s_delay_alu instid0(VALU_DEP_3) | instskip(NEXT) | instid1(VALU_DEP_3)
	v_cmp_le_u32_e32 vcc_lo, s3, v2
	v_ashrrev_i32_e32 v3, 31, v3
	s_delay_alu instid0(VALU_DEP_3) | instskip(NEXT) | instid1(VALU_DEP_1)
	v_cndmask_b32_e32 v1, v1, v4, vcc_lo
	v_xor_b32_e32 v1, v1, v3
	s_delay_alu instid0(VALU_DEP_1) | instskip(NEXT) | instid1(VALU_DEP_1)
	v_sub_nc_u32_e32 v3, v1, v3
	v_ashrrev_i32_e32 v4, 31, v3
	v_mul_lo_u32 v5, v3, s2
	s_waitcnt lgkmcnt(0)
	v_mul_lo_u32 v6, v3, s7
	v_mad_u64_u32 v[1:2], null, v3, s6, 0
	v_mul_lo_u32 v4, v4, s6
	s_delay_alu instid0(VALU_DEP_4) | instskip(NEXT) | instid1(VALU_DEP_2)
	v_sub_nc_u32_e32 v3, v0, v5
	v_add3_u32 v2, v2, v6, v4
	s_delay_alu instid0(VALU_DEP_2) | instskip(NEXT) | instid1(VALU_DEP_2)
	v_ashrrev_i32_e32 v4, 31, v3
	v_lshlrev_b64 v[1:2], 3, v[1:2]
	s_delay_alu instid0(VALU_DEP_2) | instskip(NEXT) | instid1(VALU_DEP_2)
	v_lshlrev_b64 v[3:4], 3, v[3:4]
	v_add_co_u32 v1, vcc_lo, s4, v1
	s_delay_alu instid0(VALU_DEP_3) | instskip(NEXT) | instid1(VALU_DEP_2)
	v_add_co_ci_u32_e32 v2, vcc_lo, s5, v2, vcc_lo
	v_add_co_u32 v1, vcc_lo, v1, v3
	s_delay_alu instid0(VALU_DEP_2) | instskip(SKIP_2) | instid1(VALU_DEP_1)
	v_add_co_ci_u32_e32 v2, vcc_lo, v2, v4, vcc_lo
	global_load_b64 v[2:3], v[1:2], off
	v_ashrrev_i32_e32 v1, 31, v0
	v_lshlrev_b64 v[0:1], 3, v[0:1]
	s_waitcnt vmcnt(0)
	v_cmp_gt_f64_e32 vcc_lo, 0, v[2:3]
	v_xor_b32_e32 v4, 0x80000000, v3
	s_delay_alu instid0(VALU_DEP_1) | instskip(NEXT) | instid1(VALU_DEP_4)
	v_dual_cndmask_b32 v2, v2, v2 :: v_dual_cndmask_b32 v3, v3, v4
	v_add_co_u32 v0, vcc_lo, s0, v0
	v_add_co_ci_u32_e32 v1, vcc_lo, s1, v1, vcc_lo
	global_store_b64 v[0:1], v[2:3], off
.LBB3_2:
	s_nop 0
	s_sendmsg sendmsg(MSG_DEALLOC_VGPRS)
	s_endpgm
	.section	.rodata,"a",@progbits
	.p2align	6, 0x0
	.amdhsa_kernel _ZN9rocsparseL10abs_kernelILi256EdEEviiPKT0_lPS1_
		.amdhsa_group_segment_fixed_size 0
		.amdhsa_private_segment_fixed_size 0
		.amdhsa_kernarg_size 32
		.amdhsa_user_sgpr_count 15
		.amdhsa_user_sgpr_dispatch_ptr 0
		.amdhsa_user_sgpr_queue_ptr 0
		.amdhsa_user_sgpr_kernarg_segment_ptr 1
		.amdhsa_user_sgpr_dispatch_id 0
		.amdhsa_user_sgpr_private_segment_size 0
		.amdhsa_wavefront_size32 1
		.amdhsa_uses_dynamic_stack 0
		.amdhsa_enable_private_segment 0
		.amdhsa_system_sgpr_workgroup_id_x 1
		.amdhsa_system_sgpr_workgroup_id_y 0
		.amdhsa_system_sgpr_workgroup_id_z 0
		.amdhsa_system_sgpr_workgroup_info 0
		.amdhsa_system_vgpr_workitem_id 0
		.amdhsa_next_free_vgpr 7
		.amdhsa_next_free_sgpr 16
		.amdhsa_reserve_vcc 1
		.amdhsa_float_round_mode_32 0
		.amdhsa_float_round_mode_16_64 0
		.amdhsa_float_denorm_mode_32 3
		.amdhsa_float_denorm_mode_16_64 3
		.amdhsa_dx10_clamp 1
		.amdhsa_ieee_mode 1
		.amdhsa_fp16_overflow 0
		.amdhsa_workgroup_processor_mode 1
		.amdhsa_memory_ordered 1
		.amdhsa_forward_progress 0
		.amdhsa_shared_vgpr_count 0
		.amdhsa_exception_fp_ieee_invalid_op 0
		.amdhsa_exception_fp_denorm_src 0
		.amdhsa_exception_fp_ieee_div_zero 0
		.amdhsa_exception_fp_ieee_overflow 0
		.amdhsa_exception_fp_ieee_underflow 0
		.amdhsa_exception_fp_ieee_inexact 0
		.amdhsa_exception_int_div_zero 0
	.end_amdhsa_kernel
	.section	.text._ZN9rocsparseL10abs_kernelILi256EdEEviiPKT0_lPS1_,"axG",@progbits,_ZN9rocsparseL10abs_kernelILi256EdEEviiPKT0_lPS1_,comdat
.Lfunc_end3:
	.size	_ZN9rocsparseL10abs_kernelILi256EdEEviiPKT0_lPS1_, .Lfunc_end3-_ZN9rocsparseL10abs_kernelILi256EdEEviiPKT0_lPS1_
                                        ; -- End function
	.section	.AMDGPU.csdata,"",@progbits
; Kernel info:
; codeLenInByte = 420
; NumSgprs: 18
; NumVgprs: 7
; ScratchSize: 0
; MemoryBound: 0
; FloatMode: 240
; IeeeMode: 1
; LDSByteSize: 0 bytes/workgroup (compile time only)
; SGPRBlocks: 2
; VGPRBlocks: 0
; NumSGPRsForWavesPerEU: 18
; NumVGPRsForWavesPerEU: 7
; Occupancy: 16
; WaveLimiterHint : 0
; COMPUTE_PGM_RSRC2:SCRATCH_EN: 0
; COMPUTE_PGM_RSRC2:USER_SGPR: 15
; COMPUTE_PGM_RSRC2:TRAP_HANDLER: 0
; COMPUTE_PGM_RSRC2:TGID_X_EN: 1
; COMPUTE_PGM_RSRC2:TGID_Y_EN: 0
; COMPUTE_PGM_RSRC2:TGID_Z_EN: 0
; COMPUTE_PGM_RSRC2:TIDIG_COMP_CNT: 0
	.section	.text._ZN9rocsparseL27prune_dense2csr_nnz_kernel2ILi64ELi16EdEEviiPKT1_lS3_Pi,"axG",@progbits,_ZN9rocsparseL27prune_dense2csr_nnz_kernel2ILi64ELi16EdEEviiPKT1_lS3_Pi,comdat
	.globl	_ZN9rocsparseL27prune_dense2csr_nnz_kernel2ILi64ELi16EdEEviiPKT1_lS3_Pi ; -- Begin function _ZN9rocsparseL27prune_dense2csr_nnz_kernel2ILi64ELi16EdEEviiPKT1_lS3_Pi
	.p2align	8
	.type	_ZN9rocsparseL27prune_dense2csr_nnz_kernel2ILi64ELi16EdEEviiPKT1_lS3_Pi,@function
_ZN9rocsparseL27prune_dense2csr_nnz_kernel2ILi64ELi16EdEEviiPKT1_lS3_Pi: ; @_ZN9rocsparseL27prune_dense2csr_nnz_kernel2ILi64ELi16EdEEviiPKT1_lS3_Pi
; %bb.0:
	s_clause 0x1
	s_load_b32 s2, s[0:1], 0x34
	s_load_b256 s[16:23], s[0:1], 0x0
	s_mov_b32 s8, 0
	s_load_b64 s[12:13], s[0:1], 0x20
	s_mov_b32 s9, s8
	s_mov_b32 s10, s8
	s_mov_b32 s11, s8
	v_and_b32_e32 v1, 0x3ff, v0
	v_bfe_u32 v0, v0, 10, 10
	s_lshl_b32 s7, s15, 8
	s_waitcnt lgkmcnt(0)
	s_and_b32 s0, s2, 0xffff
	s_load_b64 s[14:15], s[22:23], 0x0
	v_mad_u32_u24 v7, v0, s0, v1
	s_ashr_i32 s0, s17, 31
	s_mov_b32 s23, exec_lo
	s_lshr_b32 s0, s0, 26
	s_delay_alu instid0(SALU_CYCLE_1) | instskip(SKIP_3) | instid1(VALU_DEP_2)
	s_add_i32 s22, s17, s0
	v_lshrrev_b32_e32 v0, 4, v7
	v_and_b32_e32 v8, 63, v7
	s_and_not1_b32 s22, s22, 63
	v_dual_mov_b32 v0, s8 :: v_dual_and_b32 v9, 0x7ffffc, v0
	v_mov_b32_e32 v1, s9
	s_delay_alu instid0(VALU_DEP_3) | instskip(SKIP_1) | instid1(VALU_DEP_2)
	v_or_b32_e32 v4, s7, v8
	v_dual_mov_b32 v2, s10 :: v_dual_mov_b32 v3, s11
	v_or_b32_e32 v12, 64, v4
	v_or_b32_e32 v11, 0x80, v4
	;; [unrolled: 1-line block ×3, first 2 shown]
	v_cmpx_gt_i32_e64 s22, v9
	s_cbranch_execz .LBB4_12
; %bb.1:
	v_lshrrev_b32_e32 v6, 6, v7
	v_cmp_gt_i32_e32 vcc_lo, s16, v4
	v_cmp_gt_i32_e64 s0, s16, v12
	v_cmp_gt_i32_e64 s1, s16, v11
	;; [unrolled: 1-line block ×3, first 2 shown]
	v_lshlrev_b32_e32 v21, 2, v6
	v_mad_u64_u32 v[0:1], null, s20, v6, 0
	s_delay_alu instid0(VALU_DEP_2) | instskip(SKIP_1) | instid1(VALU_DEP_2)
	v_or_b32_e32 v20, 2, v21
	v_or_b32_e32 v22, 3, v21
	v_mad_u64_u32 v[2:3], null, s20, v20, 0
	s_delay_alu instid0(VALU_DEP_2) | instskip(NEXT) | instid1(VALU_DEP_2)
	v_mad_u64_u32 v[15:16], null, s20, v22, 0
	v_mad_u64_u32 v[17:18], null, s21, v6, v[1:2]
	s_delay_alu instid0(VALU_DEP_2) | instskip(SKIP_2) | instid1(VALU_DEP_2)
	v_mov_b32_e32 v6, v16
	v_mad_u64_u32 v[13:14], null, s20, v21, s[20:21]
	v_mad_u64_u32 v[18:19], null, s21, v20, v[3:4]
	v_mov_b32_e32 v1, v14
	s_delay_alu instid0(VALU_DEP_2) | instskip(NEXT) | instid1(VALU_DEP_2)
	v_mov_b32_e32 v3, v18
	v_mad_u64_u32 v[19:20], null, s21, v21, v[1:2]
	v_mad_u64_u32 v[20:21], null, s21, v22, v[6:7]
	s_delay_alu instid0(VALU_DEP_3) | instskip(SKIP_1) | instid1(VALU_DEP_4)
	v_lshlrev_b64 v[2:3], 3, v[2:3]
	v_add_nc_u32_e32 v5, s7, v8
	v_dual_mov_b32 v1, v17 :: v_dual_mov_b32 v14, v19
	s_delay_alu instid0(VALU_DEP_4) | instskip(NEXT) | instid1(VALU_DEP_2)
	v_mov_b32_e32 v16, v20
	v_lshlrev_b64 v[0:1], 5, v[0:1]
	s_delay_alu instid0(VALU_DEP_4) | instskip(NEXT) | instid1(VALU_DEP_4)
	v_ashrrev_i32_e32 v6, 31, v5
	v_lshlrev_b64 v[19:20], 3, v[13:14]
	v_add_co_u32 v13, s3, s18, v2
	v_lshlrev_b64 v[15:16], 3, v[15:16]
	v_add_co_ci_u32_e64 v14, s3, s19, v3, s3
	v_lshlrev_b64 v[5:6], 3, v[5:6]
	s_delay_alu instid0(VALU_DEP_3) | instskip(NEXT) | instid1(VALU_DEP_1)
	v_add_co_u32 v15, s3, s18, v15
	v_add_co_ci_u32_e64 v16, s3, s19, v16, s3
	v_add_co_u32 v17, s3, s18, v0
	s_delay_alu instid0(VALU_DEP_1)
	v_add_co_ci_u32_e64 v18, s3, s19, v1, s3
	v_add_co_u32 v19, s3, s18, v19
	v_dual_mov_b32 v0, s8 :: v_dual_mov_b32 v1, s9
	v_add_co_ci_u32_e64 v20, s3, s19, v20, s3
	v_dual_mov_b32 v2, s10 :: v_dual_mov_b32 v3, s11
	s_lshl_b64 s[10:11], s[20:21], 9
	s_branch .LBB4_3
.LBB4_2:                                ;   in Loop: Header=BB4_3 Depth=1
	s_or_b32 exec_lo, exec_lo, s9
	v_add_co_u32 v13, s3, v13, s10
	s_delay_alu instid0(VALU_DEP_1) | instskip(SKIP_4) | instid1(VALU_DEP_1)
	v_add_co_ci_u32_e64 v14, s3, s11, v14, s3
	v_add_co_u32 v15, s3, v15, s10
	v_add_nc_u32_e32 v9, 64, v9
	v_add_co_ci_u32_e64 v16, s3, s11, v16, s3
	v_add_co_u32 v17, s3, v17, s10
	v_add_co_ci_u32_e64 v18, s3, s11, v18, s3
	s_delay_alu instid0(VALU_DEP_4) | instskip(SKIP_1) | instid1(VALU_DEP_1)
	v_cmp_le_i32_e64 s3, s22, v9
	v_add_co_u32 v19, s4, v19, s10
	v_add_co_ci_u32_e64 v20, s4, s11, v20, s4
	s_delay_alu instid0(VALU_DEP_3) | instskip(NEXT) | instid1(SALU_CYCLE_1)
	s_or_b32 s8, s3, s8
	s_and_not1_b32 exec_lo, exec_lo, s8
	s_cbranch_execz .LBB4_11
.LBB4_3:                                ; =>This Inner Loop Header: Depth=1
	s_and_saveexec_b32 s9, vcc_lo
	s_cbranch_execnz .LBB4_7
; %bb.4:                                ;   in Loop: Header=BB4_3 Depth=1
	s_or_b32 exec_lo, exec_lo, s9
	s_and_saveexec_b32 s9, s0
	s_cbranch_execnz .LBB4_8
.LBB4_5:                                ;   in Loop: Header=BB4_3 Depth=1
	s_or_b32 exec_lo, exec_lo, s9
	s_and_saveexec_b32 s9, s1
	s_cbranch_execnz .LBB4_9
.LBB4_6:                                ;   in Loop: Header=BB4_3 Depth=1
	s_or_b32 exec_lo, exec_lo, s9
	s_and_saveexec_b32 s9, s2
	s_cbranch_execz .LBB4_2
	s_branch .LBB4_10
.LBB4_7:                                ;   in Loop: Header=BB4_3 Depth=1
	v_add_co_u32 v21, s3, v17, v5
	s_delay_alu instid0(VALU_DEP_1) | instskip(SKIP_1) | instid1(VALU_DEP_1)
	v_add_co_ci_u32_e64 v22, s3, v18, v6, s3
	v_add_co_u32 v23, s3, v19, v5
	v_add_co_ci_u32_e64 v24, s3, v20, v6, s3
	global_load_b64 v[21:22], v[21:22], off
	v_add_co_u32 v25, s3, v13, v5
	s_delay_alu instid0(VALU_DEP_1) | instskip(SKIP_1) | instid1(VALU_DEP_1)
	v_add_co_ci_u32_e64 v26, s3, v14, v6, s3
	v_add_co_u32 v27, s3, v15, v5
	v_add_co_ci_u32_e64 v28, s3, v16, v6, s3
	global_load_b64 v[23:24], v[23:24], off
	global_load_b64 v[25:26], v[25:26], off
	;; [unrolled: 1-line block ×3, first 2 shown]
	s_waitcnt vmcnt(3)
	v_cmp_gt_f64_e64 s3, 0, v[21:22]
	v_xor_b32_e32 v29, 0x80000000, v22
	s_waitcnt vmcnt(2)
	v_cmp_gt_f64_e64 s4, 0, v[23:24]
	v_xor_b32_e32 v30, 0x80000000, v24
	;; [unrolled: 3-line block ×4, first 2 shown]
	v_cndmask_b32_e64 v22, v22, v29, s3
	v_cndmask_b32_e64 v21, v21, v21, s3
	s_waitcnt lgkmcnt(0)
	s_delay_alu instid0(VALU_DEP_1)
	v_cmp_lt_f64_e64 s3, s[14:15], v[21:22]
	v_cndmask_b32_e64 v24, v24, v30, s4
	v_cndmask_b32_e64 v23, v23, v23, s4
	;; [unrolled: 1-line block ×7, first 2 shown]
	v_cmp_lt_f64_e64 s3, s[14:15], v[23:24]
	s_delay_alu instid0(VALU_DEP_1) | instskip(SKIP_1) | instid1(VALU_DEP_1)
	v_add_co_ci_u32_e64 v0, s3, v0, v21, s3
	v_cmp_lt_f64_e64 s3, s[14:15], v[25:26]
	v_cndmask_b32_e64 v21, 0, 1, s3
	v_cmp_lt_f64_e64 s3, s[14:15], v[27:28]
	s_delay_alu instid0(VALU_DEP_1)
	v_add_co_ci_u32_e64 v0, s3, v0, v21, s3
	s_or_b32 exec_lo, exec_lo, s9
	s_and_saveexec_b32 s9, s0
	s_cbranch_execz .LBB4_5
.LBB4_8:                                ;   in Loop: Header=BB4_3 Depth=1
	v_add_co_u32 v21, s3, v17, v5
	s_delay_alu instid0(VALU_DEP_1) | instskip(SKIP_1) | instid1(VALU_DEP_1)
	v_add_co_ci_u32_e64 v22, s3, v18, v6, s3
	v_add_co_u32 v23, s3, v19, v5
	v_add_co_ci_u32_e64 v24, s3, v20, v6, s3
	global_load_b64 v[21:22], v[21:22], off offset:512
	v_add_co_u32 v25, s3, v13, v5
	s_delay_alu instid0(VALU_DEP_1) | instskip(SKIP_1) | instid1(VALU_DEP_1)
	v_add_co_ci_u32_e64 v26, s3, v14, v6, s3
	v_add_co_u32 v27, s3, v15, v5
	v_add_co_ci_u32_e64 v28, s3, v16, v6, s3
	global_load_b64 v[23:24], v[23:24], off offset:512
	global_load_b64 v[25:26], v[25:26], off offset:512
	;; [unrolled: 1-line block ×3, first 2 shown]
	s_waitcnt vmcnt(3)
	v_cmp_gt_f64_e64 s3, 0, v[21:22]
	v_xor_b32_e32 v29, 0x80000000, v22
	s_waitcnt vmcnt(2)
	v_cmp_gt_f64_e64 s4, 0, v[23:24]
	v_xor_b32_e32 v30, 0x80000000, v24
	s_waitcnt vmcnt(1)
	v_cmp_gt_f64_e64 s5, 0, v[25:26]
	v_xor_b32_e32 v31, 0x80000000, v26
	s_waitcnt vmcnt(0)
	v_cmp_gt_f64_e64 s6, 0, v[27:28]
	v_xor_b32_e32 v32, 0x80000000, v28
	v_cndmask_b32_e64 v22, v22, v29, s3
	v_cndmask_b32_e64 v21, v21, v21, s3
	s_waitcnt lgkmcnt(0)
	s_delay_alu instid0(VALU_DEP_1)
	v_cmp_lt_f64_e64 s3, s[14:15], v[21:22]
	v_cndmask_b32_e64 v24, v24, v30, s4
	v_cndmask_b32_e64 v23, v23, v23, s4
	;; [unrolled: 1-line block ×7, first 2 shown]
	v_cmp_lt_f64_e64 s3, s[14:15], v[23:24]
	s_delay_alu instid0(VALU_DEP_1) | instskip(SKIP_1) | instid1(VALU_DEP_1)
	v_add_co_ci_u32_e64 v1, s3, v1, v21, s3
	v_cmp_lt_f64_e64 s3, s[14:15], v[25:26]
	v_cndmask_b32_e64 v21, 0, 1, s3
	v_cmp_lt_f64_e64 s3, s[14:15], v[27:28]
	s_delay_alu instid0(VALU_DEP_1)
	v_add_co_ci_u32_e64 v1, s3, v1, v21, s3
	s_or_b32 exec_lo, exec_lo, s9
	s_and_saveexec_b32 s9, s1
	s_cbranch_execz .LBB4_6
.LBB4_9:                                ;   in Loop: Header=BB4_3 Depth=1
	v_add_co_u32 v21, s3, v17, v5
	s_delay_alu instid0(VALU_DEP_1) | instskip(SKIP_1) | instid1(VALU_DEP_1)
	v_add_co_ci_u32_e64 v22, s3, v18, v6, s3
	v_add_co_u32 v23, s3, v19, v5
	v_add_co_ci_u32_e64 v24, s3, v20, v6, s3
	global_load_b64 v[21:22], v[21:22], off offset:1024
	v_add_co_u32 v25, s3, v13, v5
	s_delay_alu instid0(VALU_DEP_1) | instskip(SKIP_1) | instid1(VALU_DEP_1)
	v_add_co_ci_u32_e64 v26, s3, v14, v6, s3
	v_add_co_u32 v27, s3, v15, v5
	v_add_co_ci_u32_e64 v28, s3, v16, v6, s3
	global_load_b64 v[23:24], v[23:24], off offset:1024
	global_load_b64 v[25:26], v[25:26], off offset:1024
	;; [unrolled: 1-line block ×3, first 2 shown]
	s_waitcnt vmcnt(3)
	v_cmp_gt_f64_e64 s3, 0, v[21:22]
	v_xor_b32_e32 v29, 0x80000000, v22
	s_waitcnt vmcnt(2)
	v_cmp_gt_f64_e64 s4, 0, v[23:24]
	v_xor_b32_e32 v30, 0x80000000, v24
	;; [unrolled: 3-line block ×4, first 2 shown]
	v_cndmask_b32_e64 v22, v22, v29, s3
	v_cndmask_b32_e64 v21, v21, v21, s3
	s_waitcnt lgkmcnt(0)
	s_delay_alu instid0(VALU_DEP_1)
	v_cmp_lt_f64_e64 s3, s[14:15], v[21:22]
	v_cndmask_b32_e64 v24, v24, v30, s4
	v_cndmask_b32_e64 v23, v23, v23, s4
	;; [unrolled: 1-line block ×7, first 2 shown]
	v_cmp_lt_f64_e64 s3, s[14:15], v[23:24]
	s_delay_alu instid0(VALU_DEP_1) | instskip(SKIP_1) | instid1(VALU_DEP_1)
	v_add_co_ci_u32_e64 v2, s3, v2, v21, s3
	v_cmp_lt_f64_e64 s3, s[14:15], v[25:26]
	v_cndmask_b32_e64 v21, 0, 1, s3
	v_cmp_lt_f64_e64 s3, s[14:15], v[27:28]
	s_delay_alu instid0(VALU_DEP_1)
	v_add_co_ci_u32_e64 v2, s3, v2, v21, s3
	s_or_b32 exec_lo, exec_lo, s9
	s_and_saveexec_b32 s9, s2
	s_cbranch_execz .LBB4_2
.LBB4_10:                               ;   in Loop: Header=BB4_3 Depth=1
	v_add_co_u32 v21, s3, v17, v5
	s_delay_alu instid0(VALU_DEP_1) | instskip(SKIP_1) | instid1(VALU_DEP_1)
	v_add_co_ci_u32_e64 v22, s3, v18, v6, s3
	v_add_co_u32 v23, s3, v19, v5
	v_add_co_ci_u32_e64 v24, s3, v20, v6, s3
	global_load_b64 v[21:22], v[21:22], off offset:1536
	v_add_co_u32 v25, s3, v13, v5
	s_delay_alu instid0(VALU_DEP_1) | instskip(SKIP_1) | instid1(VALU_DEP_1)
	v_add_co_ci_u32_e64 v26, s3, v14, v6, s3
	v_add_co_u32 v27, s3, v15, v5
	v_add_co_ci_u32_e64 v28, s3, v16, v6, s3
	global_load_b64 v[23:24], v[23:24], off offset:1536
	global_load_b64 v[25:26], v[25:26], off offset:1536
	;; [unrolled: 1-line block ×3, first 2 shown]
	s_waitcnt vmcnt(3)
	v_cmp_gt_f64_e64 s3, 0, v[21:22]
	v_xor_b32_e32 v29, 0x80000000, v22
	s_waitcnt vmcnt(2)
	v_cmp_gt_f64_e64 s4, 0, v[23:24]
	v_xor_b32_e32 v30, 0x80000000, v24
	;; [unrolled: 3-line block ×4, first 2 shown]
	v_cndmask_b32_e64 v22, v22, v29, s3
	v_cndmask_b32_e64 v21, v21, v21, s3
	s_waitcnt lgkmcnt(0)
	s_delay_alu instid0(VALU_DEP_1)
	v_cmp_lt_f64_e64 s3, s[14:15], v[21:22]
	v_cndmask_b32_e64 v24, v24, v30, s4
	v_cndmask_b32_e64 v23, v23, v23, s4
	;; [unrolled: 1-line block ×7, first 2 shown]
	v_cmp_lt_f64_e64 s3, s[14:15], v[23:24]
	s_delay_alu instid0(VALU_DEP_1) | instskip(SKIP_1) | instid1(VALU_DEP_1)
	v_add_co_ci_u32_e64 v3, s3, v3, v21, s3
	v_cmp_lt_f64_e64 s3, s[14:15], v[25:26]
	v_cndmask_b32_e64 v21, 0, 1, s3
	v_cmp_lt_f64_e64 s3, s[14:15], v[27:28]
	s_delay_alu instid0(VALU_DEP_1)
	v_add_co_ci_u32_e64 v3, s3, v3, v21, s3
	s_branch .LBB4_2
.LBB4_11:
	s_or_b32 exec_lo, exec_lo, s8
.LBB4_12:
	s_delay_alu instid0(SALU_CYCLE_1) | instskip(SKIP_1) | instid1(SALU_CYCLE_1)
	s_or_b32 exec_lo, exec_lo, s23
	s_sub_i32 s0, s17, s22
	s_cmp_lt_i32 s0, 1
	s_cbranch_scc1 .LBB4_54
; %bb.13:
	v_ashrrev_i32_e32 v5, 31, v4
	s_mov_b32 s0, exec_lo
	v_cmpx_gt_i32_e64 s16, v4
	s_cbranch_execnz .LBB4_17
; %bb.14:
	s_or_b32 exec_lo, exec_lo, s0
	s_delay_alu instid0(SALU_CYCLE_1)
	s_mov_b32 s0, exec_lo
	v_cmpx_gt_i32_e64 s16, v12
	s_cbranch_execnz .LBB4_26
.LBB4_15:
	s_or_b32 exec_lo, exec_lo, s0
	s_delay_alu instid0(SALU_CYCLE_1)
	s_mov_b32 s0, exec_lo
	v_cmpx_gt_i32_e64 s16, v11
	s_cbranch_execnz .LBB4_35
.LBB4_16:
	s_or_b32 exec_lo, exec_lo, s0
	s_delay_alu instid0(SALU_CYCLE_1)
	s_mov_b32 s0, exec_lo
	v_cmpx_gt_i32_e64 s16, v10
	s_cbranch_execnz .LBB4_44
	s_branch .LBB4_53
.LBB4_17:
	s_delay_alu instid0(VALU_DEP_2) | instskip(SKIP_1) | instid1(VALU_DEP_1)
	v_lshlrev_b64 v[13:14], 3, v[4:5]
	s_mov_b32 s1, exec_lo
	v_add_co_u32 v6, vcc_lo, s18, v13
	s_delay_alu instid0(VALU_DEP_2)
	v_add_co_ci_u32_e32 v13, vcc_lo, s19, v14, vcc_lo
	v_cmpx_gt_i32_e64 s17, v9
	s_cbranch_execz .LBB4_19
; %bb.18:
	v_mad_u64_u32 v[14:15], null, v9, s20, 0
	s_delay_alu instid0(VALU_DEP_1) | instskip(NEXT) | instid1(VALU_DEP_1)
	v_mad_u64_u32 v[16:17], null, v9, s21, v[15:16]
	v_mov_b32_e32 v15, v16
	s_delay_alu instid0(VALU_DEP_1) | instskip(NEXT) | instid1(VALU_DEP_1)
	v_lshlrev_b64 v[14:15], 3, v[14:15]
	v_add_co_u32 v14, vcc_lo, v6, v14
	s_delay_alu instid0(VALU_DEP_2) | instskip(SKIP_4) | instid1(VALU_DEP_1)
	v_add_co_ci_u32_e32 v15, vcc_lo, v13, v15, vcc_lo
	global_load_b64 v[14:15], v[14:15], off
	s_waitcnt vmcnt(0)
	v_cmp_gt_f64_e32 vcc_lo, 0, v[14:15]
	v_xor_b32_e32 v16, 0x80000000, v15
	v_dual_cndmask_b32 v14, v14, v14 :: v_dual_cndmask_b32 v15, v15, v16
	s_waitcnt lgkmcnt(0)
	s_delay_alu instid0(VALU_DEP_1)
	v_cmp_lt_f64_e32 vcc_lo, s[14:15], v[14:15]
	v_add_co_ci_u32_e32 v0, vcc_lo, 0, v0, vcc_lo
.LBB4_19:
	s_or_b32 exec_lo, exec_lo, s1
	v_or_b32_e32 v14, 1, v9
	s_mov_b32 s1, exec_lo
	s_delay_alu instid0(VALU_DEP_1)
	v_cmpx_gt_i32_e64 s17, v14
	s_cbranch_execz .LBB4_21
; %bb.20:
	v_mad_u64_u32 v[15:16], null, v14, s20, 0
	s_delay_alu instid0(VALU_DEP_1) | instskip(NEXT) | instid1(VALU_DEP_1)
	v_mad_u64_u32 v[17:18], null, v14, s21, v[16:17]
	v_mov_b32_e32 v16, v17
	s_delay_alu instid0(VALU_DEP_1) | instskip(NEXT) | instid1(VALU_DEP_1)
	v_lshlrev_b64 v[14:15], 3, v[15:16]
	v_add_co_u32 v14, vcc_lo, v6, v14
	s_delay_alu instid0(VALU_DEP_2) | instskip(SKIP_4) | instid1(VALU_DEP_1)
	v_add_co_ci_u32_e32 v15, vcc_lo, v13, v15, vcc_lo
	global_load_b64 v[14:15], v[14:15], off
	s_waitcnt vmcnt(0)
	v_cmp_gt_f64_e32 vcc_lo, 0, v[14:15]
	v_xor_b32_e32 v16, 0x80000000, v15
	v_dual_cndmask_b32 v15, v15, v16 :: v_dual_cndmask_b32 v14, v14, v14
	s_waitcnt lgkmcnt(0)
	s_delay_alu instid0(VALU_DEP_1)
	v_cmp_lt_f64_e32 vcc_lo, s[14:15], v[14:15]
	v_add_co_ci_u32_e32 v0, vcc_lo, 0, v0, vcc_lo
.LBB4_21:
	s_or_b32 exec_lo, exec_lo, s1
	v_or_b32_e32 v14, 2, v9
	s_mov_b32 s1, exec_lo
	s_delay_alu instid0(VALU_DEP_1)
	;; [unrolled: 26-line block ×3, first 2 shown]
	v_cmpx_gt_i32_e64 s17, v14
	s_cbranch_execz .LBB4_25
; %bb.24:
	v_mad_u64_u32 v[15:16], null, v14, s20, 0
	s_delay_alu instid0(VALU_DEP_1) | instskip(NEXT) | instid1(VALU_DEP_1)
	v_mad_u64_u32 v[17:18], null, v14, s21, v[16:17]
	v_mov_b32_e32 v16, v17
	s_delay_alu instid0(VALU_DEP_1) | instskip(NEXT) | instid1(VALU_DEP_1)
	v_lshlrev_b64 v[14:15], 3, v[15:16]
	v_add_co_u32 v14, vcc_lo, v6, v14
	s_delay_alu instid0(VALU_DEP_2) | instskip(SKIP_4) | instid1(VALU_DEP_1)
	v_add_co_ci_u32_e32 v15, vcc_lo, v13, v15, vcc_lo
	global_load_b64 v[13:14], v[14:15], off
	s_waitcnt vmcnt(0)
	v_cmp_gt_f64_e32 vcc_lo, 0, v[13:14]
	v_xor_b32_e32 v6, 0x80000000, v14
	v_dual_cndmask_b32 v14, v14, v6 :: v_dual_cndmask_b32 v13, v13, v13
	s_waitcnt lgkmcnt(0)
	s_delay_alu instid0(VALU_DEP_1)
	v_cmp_lt_f64_e32 vcc_lo, s[14:15], v[13:14]
	v_add_co_ci_u32_e32 v0, vcc_lo, 0, v0, vcc_lo
.LBB4_25:
	s_or_b32 exec_lo, exec_lo, s1
	s_delay_alu instid0(SALU_CYCLE_1) | instskip(NEXT) | instid1(SALU_CYCLE_1)
	s_or_b32 exec_lo, exec_lo, s0
	s_mov_b32 s0, exec_lo
	v_cmpx_gt_i32_e64 s16, v12
	s_cbranch_execz .LBB4_15
.LBB4_26:
	v_lshlrev_b64 v[12:13], 3, v[4:5]
	s_mov_b32 s1, exec_lo
	s_delay_alu instid0(VALU_DEP_1) | instskip(NEXT) | instid1(VALU_DEP_2)
	v_add_co_u32 v6, vcc_lo, s18, v12
	v_add_co_ci_u32_e32 v12, vcc_lo, s19, v13, vcc_lo
	v_cmpx_gt_i32_e64 s17, v9
	s_cbranch_execz .LBB4_28
; %bb.27:
	v_mad_u64_u32 v[13:14], null, v9, s20, 0
	s_delay_alu instid0(VALU_DEP_1) | instskip(NEXT) | instid1(VALU_DEP_1)
	v_mad_u64_u32 v[15:16], null, v9, s21, v[14:15]
	v_mov_b32_e32 v14, v15
	s_delay_alu instid0(VALU_DEP_1) | instskip(NEXT) | instid1(VALU_DEP_1)
	v_lshlrev_b64 v[13:14], 3, v[13:14]
	v_add_co_u32 v13, vcc_lo, v6, v13
	s_delay_alu instid0(VALU_DEP_2) | instskip(SKIP_4) | instid1(VALU_DEP_1)
	v_add_co_ci_u32_e32 v14, vcc_lo, v12, v14, vcc_lo
	global_load_b64 v[13:14], v[13:14], off offset:512
	s_waitcnt vmcnt(0)
	v_cmp_gt_f64_e32 vcc_lo, 0, v[13:14]
	v_xor_b32_e32 v15, 0x80000000, v14
	v_dual_cndmask_b32 v13, v13, v13 :: v_dual_cndmask_b32 v14, v14, v15
	s_waitcnt lgkmcnt(0)
	s_delay_alu instid0(VALU_DEP_1)
	v_cmp_lt_f64_e32 vcc_lo, s[14:15], v[13:14]
	v_add_co_ci_u32_e32 v1, vcc_lo, 0, v1, vcc_lo
.LBB4_28:
	s_or_b32 exec_lo, exec_lo, s1
	v_or_b32_e32 v13, 1, v9
	s_mov_b32 s1, exec_lo
	s_delay_alu instid0(VALU_DEP_1)
	v_cmpx_gt_i32_e64 s17, v13
	s_cbranch_execz .LBB4_30
; %bb.29:
	v_mad_u64_u32 v[14:15], null, v13, s20, 0
	s_delay_alu instid0(VALU_DEP_1) | instskip(NEXT) | instid1(VALU_DEP_1)
	v_mad_u64_u32 v[16:17], null, v13, s21, v[15:16]
	v_mov_b32_e32 v15, v16
	s_delay_alu instid0(VALU_DEP_1) | instskip(NEXT) | instid1(VALU_DEP_1)
	v_lshlrev_b64 v[13:14], 3, v[14:15]
	v_add_co_u32 v13, vcc_lo, v6, v13
	s_delay_alu instid0(VALU_DEP_2) | instskip(SKIP_4) | instid1(VALU_DEP_1)
	v_add_co_ci_u32_e32 v14, vcc_lo, v12, v14, vcc_lo
	global_load_b64 v[13:14], v[13:14], off offset:512
	s_waitcnt vmcnt(0)
	v_cmp_gt_f64_e32 vcc_lo, 0, v[13:14]
	v_xor_b32_e32 v15, 0x80000000, v14
	v_dual_cndmask_b32 v14, v14, v15 :: v_dual_cndmask_b32 v13, v13, v13
	s_waitcnt lgkmcnt(0)
	s_delay_alu instid0(VALU_DEP_1)
	v_cmp_lt_f64_e32 vcc_lo, s[14:15], v[13:14]
	v_add_co_ci_u32_e32 v1, vcc_lo, 0, v1, vcc_lo
.LBB4_30:
	s_or_b32 exec_lo, exec_lo, s1
	v_or_b32_e32 v13, 2, v9
	s_mov_b32 s1, exec_lo
	s_delay_alu instid0(VALU_DEP_1)
	;; [unrolled: 26-line block ×3, first 2 shown]
	v_cmpx_gt_i32_e64 s17, v13
	s_cbranch_execz .LBB4_34
; %bb.33:
	v_mad_u64_u32 v[14:15], null, v13, s20, 0
	s_delay_alu instid0(VALU_DEP_1) | instskip(NEXT) | instid1(VALU_DEP_1)
	v_mad_u64_u32 v[16:17], null, v13, s21, v[15:16]
	v_mov_b32_e32 v15, v16
	s_delay_alu instid0(VALU_DEP_1) | instskip(NEXT) | instid1(VALU_DEP_1)
	v_lshlrev_b64 v[13:14], 3, v[14:15]
	v_add_co_u32 v13, vcc_lo, v6, v13
	s_delay_alu instid0(VALU_DEP_2) | instskip(SKIP_4) | instid1(VALU_DEP_1)
	v_add_co_ci_u32_e32 v14, vcc_lo, v12, v14, vcc_lo
	global_load_b64 v[12:13], v[13:14], off offset:512
	s_waitcnt vmcnt(0)
	v_cmp_gt_f64_e32 vcc_lo, 0, v[12:13]
	v_xor_b32_e32 v6, 0x80000000, v13
	v_dual_cndmask_b32 v13, v13, v6 :: v_dual_cndmask_b32 v12, v12, v12
	s_waitcnt lgkmcnt(0)
	s_delay_alu instid0(VALU_DEP_1)
	v_cmp_lt_f64_e32 vcc_lo, s[14:15], v[12:13]
	v_add_co_ci_u32_e32 v1, vcc_lo, 0, v1, vcc_lo
.LBB4_34:
	s_or_b32 exec_lo, exec_lo, s1
	s_delay_alu instid0(SALU_CYCLE_1) | instskip(NEXT) | instid1(SALU_CYCLE_1)
	s_or_b32 exec_lo, exec_lo, s0
	s_mov_b32 s0, exec_lo
	v_cmpx_gt_i32_e64 s16, v11
	s_cbranch_execz .LBB4_16
.LBB4_35:
	v_lshlrev_b64 v[11:12], 3, v[4:5]
	s_mov_b32 s1, exec_lo
	s_delay_alu instid0(VALU_DEP_1) | instskip(NEXT) | instid1(VALU_DEP_2)
	v_add_co_u32 v6, vcc_lo, s18, v11
	v_add_co_ci_u32_e32 v11, vcc_lo, s19, v12, vcc_lo
	v_cmpx_gt_i32_e64 s17, v9
	s_cbranch_execz .LBB4_37
; %bb.36:
	v_mad_u64_u32 v[12:13], null, v9, s20, 0
	s_delay_alu instid0(VALU_DEP_1) | instskip(NEXT) | instid1(VALU_DEP_1)
	v_mad_u64_u32 v[14:15], null, v9, s21, v[13:14]
	v_mov_b32_e32 v13, v14
	s_delay_alu instid0(VALU_DEP_1) | instskip(NEXT) | instid1(VALU_DEP_1)
	v_lshlrev_b64 v[12:13], 3, v[12:13]
	v_add_co_u32 v12, vcc_lo, v6, v12
	s_delay_alu instid0(VALU_DEP_2) | instskip(SKIP_4) | instid1(VALU_DEP_1)
	v_add_co_ci_u32_e32 v13, vcc_lo, v11, v13, vcc_lo
	global_load_b64 v[12:13], v[12:13], off offset:1024
	s_waitcnt vmcnt(0)
	v_cmp_gt_f64_e32 vcc_lo, 0, v[12:13]
	v_xor_b32_e32 v14, 0x80000000, v13
	v_dual_cndmask_b32 v12, v12, v12 :: v_dual_cndmask_b32 v13, v13, v14
	s_waitcnt lgkmcnt(0)
	s_delay_alu instid0(VALU_DEP_1)
	v_cmp_lt_f64_e32 vcc_lo, s[14:15], v[12:13]
	v_add_co_ci_u32_e32 v2, vcc_lo, 0, v2, vcc_lo
.LBB4_37:
	s_or_b32 exec_lo, exec_lo, s1
	v_or_b32_e32 v12, 1, v9
	s_mov_b32 s1, exec_lo
	s_delay_alu instid0(VALU_DEP_1)
	v_cmpx_gt_i32_e64 s17, v12
	s_cbranch_execz .LBB4_39
; %bb.38:
	v_mad_u64_u32 v[13:14], null, v12, s20, 0
	s_delay_alu instid0(VALU_DEP_1) | instskip(NEXT) | instid1(VALU_DEP_1)
	v_mad_u64_u32 v[15:16], null, v12, s21, v[14:15]
	v_mov_b32_e32 v14, v15
	s_delay_alu instid0(VALU_DEP_1) | instskip(NEXT) | instid1(VALU_DEP_1)
	v_lshlrev_b64 v[12:13], 3, v[13:14]
	v_add_co_u32 v12, vcc_lo, v6, v12
	s_delay_alu instid0(VALU_DEP_2) | instskip(SKIP_4) | instid1(VALU_DEP_1)
	v_add_co_ci_u32_e32 v13, vcc_lo, v11, v13, vcc_lo
	global_load_b64 v[12:13], v[12:13], off offset:1024
	s_waitcnt vmcnt(0)
	v_cmp_gt_f64_e32 vcc_lo, 0, v[12:13]
	v_xor_b32_e32 v14, 0x80000000, v13
	v_dual_cndmask_b32 v13, v13, v14 :: v_dual_cndmask_b32 v12, v12, v12
	s_waitcnt lgkmcnt(0)
	s_delay_alu instid0(VALU_DEP_1)
	v_cmp_lt_f64_e32 vcc_lo, s[14:15], v[12:13]
	v_add_co_ci_u32_e32 v2, vcc_lo, 0, v2, vcc_lo
.LBB4_39:
	s_or_b32 exec_lo, exec_lo, s1
	v_or_b32_e32 v12, 2, v9
	s_mov_b32 s1, exec_lo
	s_delay_alu instid0(VALU_DEP_1)
	v_cmpx_gt_i32_e64 s17, v12
	s_cbranch_execz .LBB4_41
; %bb.40:
	v_mad_u64_u32 v[13:14], null, v12, s20, 0
	s_delay_alu instid0(VALU_DEP_1) | instskip(NEXT) | instid1(VALU_DEP_1)
	v_mad_u64_u32 v[15:16], null, v12, s21, v[14:15]
	v_mov_b32_e32 v14, v15
	s_delay_alu instid0(VALU_DEP_1) | instskip(NEXT) | instid1(VALU_DEP_1)
	v_lshlrev_b64 v[12:13], 3, v[13:14]
	v_add_co_u32 v12, vcc_lo, v6, v12
	s_delay_alu instid0(VALU_DEP_2) | instskip(SKIP_4) | instid1(VALU_DEP_1)
	v_add_co_ci_u32_e32 v13, vcc_lo, v11, v13, vcc_lo
	global_load_b64 v[12:13], v[12:13], off offset:1024
	s_waitcnt vmcnt(0)
	v_cmp_gt_f64_e32 vcc_lo, 0, v[12:13]
	v_xor_b32_e32 v14, 0x80000000, v13
	v_dual_cndmask_b32 v13, v13, v14 :: v_dual_cndmask_b32 v12, v12, v12
	s_waitcnt lgkmcnt(0)
	s_delay_alu instid0(VALU_DEP_1)
	v_cmp_lt_f64_e32 vcc_lo, s[14:15], v[12:13]
	v_add_co_ci_u32_e32 v2, vcc_lo, 0, v2, vcc_lo
.LBB4_41:
	s_or_b32 exec_lo, exec_lo, s1
	v_or_b32_e32 v12, 3, v9
	s_mov_b32 s1, exec_lo
	s_delay_alu instid0(VALU_DEP_1)
	v_cmpx_gt_i32_e64 s17, v12
	s_cbranch_execz .LBB4_43
; %bb.42:
	v_mad_u64_u32 v[13:14], null, v12, s20, 0
	s_delay_alu instid0(VALU_DEP_1) | instskip(NEXT) | instid1(VALU_DEP_1)
	v_mad_u64_u32 v[15:16], null, v12, s21, v[14:15]
	v_mov_b32_e32 v14, v15
	s_delay_alu instid0(VALU_DEP_1) | instskip(NEXT) | instid1(VALU_DEP_1)
	v_lshlrev_b64 v[12:13], 3, v[13:14]
	v_add_co_u32 v12, vcc_lo, v6, v12
	s_delay_alu instid0(VALU_DEP_2) | instskip(SKIP_4) | instid1(VALU_DEP_1)
	v_add_co_ci_u32_e32 v13, vcc_lo, v11, v13, vcc_lo
	global_load_b64 v[11:12], v[12:13], off offset:1024
	s_waitcnt vmcnt(0)
	v_cmp_gt_f64_e32 vcc_lo, 0, v[11:12]
	v_xor_b32_e32 v6, 0x80000000, v12
	v_dual_cndmask_b32 v12, v12, v6 :: v_dual_cndmask_b32 v11, v11, v11
	s_waitcnt lgkmcnt(0)
	s_delay_alu instid0(VALU_DEP_1)
	v_cmp_lt_f64_e32 vcc_lo, s[14:15], v[11:12]
	v_add_co_ci_u32_e32 v2, vcc_lo, 0, v2, vcc_lo
.LBB4_43:
	s_or_b32 exec_lo, exec_lo, s1
	s_delay_alu instid0(SALU_CYCLE_1) | instskip(NEXT) | instid1(SALU_CYCLE_1)
	s_or_b32 exec_lo, exec_lo, s0
	s_mov_b32 s0, exec_lo
	v_cmpx_gt_i32_e64 s16, v10
	s_cbranch_execz .LBB4_53
.LBB4_44:
	v_lshlrev_b64 v[4:5], 3, v[4:5]
	s_mov_b32 s1, exec_lo
	s_delay_alu instid0(VALU_DEP_1) | instskip(NEXT) | instid1(VALU_DEP_2)
	v_add_co_u32 v4, vcc_lo, s18, v4
	v_add_co_ci_u32_e32 v5, vcc_lo, s19, v5, vcc_lo
	v_cmpx_gt_i32_e64 s17, v9
	s_cbranch_execz .LBB4_46
; %bb.45:
	v_mad_u64_u32 v[10:11], null, v9, s20, 0
	s_delay_alu instid0(VALU_DEP_1) | instskip(NEXT) | instid1(VALU_DEP_1)
	v_mov_b32_e32 v6, v11
	v_mad_u64_u32 v[11:12], null, v9, s21, v[6:7]
	s_delay_alu instid0(VALU_DEP_1) | instskip(NEXT) | instid1(VALU_DEP_1)
	v_lshlrev_b64 v[10:11], 3, v[10:11]
	v_add_co_u32 v10, vcc_lo, v4, v10
	s_delay_alu instid0(VALU_DEP_2) | instskip(SKIP_4) | instid1(VALU_DEP_1)
	v_add_co_ci_u32_e32 v11, vcc_lo, v5, v11, vcc_lo
	global_load_b64 v[10:11], v[10:11], off offset:1536
	s_waitcnt vmcnt(0)
	v_cmp_gt_f64_e32 vcc_lo, 0, v[10:11]
	v_xor_b32_e32 v6, 0x80000000, v11
	v_cndmask_b32_e32 v11, v11, v6, vcc_lo
	v_cndmask_b32_e32 v10, v10, v10, vcc_lo
	s_waitcnt lgkmcnt(0)
	s_delay_alu instid0(VALU_DEP_1)
	v_cmp_lt_f64_e32 vcc_lo, s[14:15], v[10:11]
	v_add_co_ci_u32_e32 v3, vcc_lo, 0, v3, vcc_lo
.LBB4_46:
	s_or_b32 exec_lo, exec_lo, s1
	v_or_b32_e32 v6, 1, v9
	s_mov_b32 s1, exec_lo
	s_delay_alu instid0(VALU_DEP_1)
	v_cmpx_gt_i32_e64 s17, v6
	s_cbranch_execz .LBB4_48
; %bb.47:
	v_mad_u64_u32 v[10:11], null, v6, s20, 0
	s_delay_alu instid0(VALU_DEP_1) | instskip(NEXT) | instid1(VALU_DEP_1)
	v_mad_u64_u32 v[12:13], null, v6, s21, v[11:12]
	v_mov_b32_e32 v11, v12
	s_delay_alu instid0(VALU_DEP_1) | instskip(NEXT) | instid1(VALU_DEP_1)
	v_lshlrev_b64 v[10:11], 3, v[10:11]
	v_add_co_u32 v10, vcc_lo, v4, v10
	s_delay_alu instid0(VALU_DEP_2)
	v_add_co_ci_u32_e32 v11, vcc_lo, v5, v11, vcc_lo
	global_load_b64 v[10:11], v[10:11], off offset:1536
	s_waitcnt vmcnt(0)
	v_cmp_gt_f64_e32 vcc_lo, 0, v[10:11]
	v_xor_b32_e32 v6, 0x80000000, v11
	v_cndmask_b32_e32 v10, v10, v10, vcc_lo
	s_delay_alu instid0(VALU_DEP_2) | instskip(SKIP_1) | instid1(VALU_DEP_1)
	v_cndmask_b32_e32 v11, v11, v6, vcc_lo
	s_waitcnt lgkmcnt(0)
	v_cmp_lt_f64_e32 vcc_lo, s[14:15], v[10:11]
	v_add_co_ci_u32_e32 v3, vcc_lo, 0, v3, vcc_lo
.LBB4_48:
	s_or_b32 exec_lo, exec_lo, s1
	v_or_b32_e32 v6, 2, v9
	s_mov_b32 s1, exec_lo
	s_delay_alu instid0(VALU_DEP_1)
	v_cmpx_gt_i32_e64 s17, v6
	s_cbranch_execz .LBB4_50
; %bb.49:
	v_mad_u64_u32 v[10:11], null, v6, s20, 0
	s_delay_alu instid0(VALU_DEP_1) | instskip(NEXT) | instid1(VALU_DEP_1)
	v_mad_u64_u32 v[12:13], null, v6, s21, v[11:12]
	v_mov_b32_e32 v11, v12
	s_delay_alu instid0(VALU_DEP_1) | instskip(NEXT) | instid1(VALU_DEP_1)
	v_lshlrev_b64 v[10:11], 3, v[10:11]
	v_add_co_u32 v10, vcc_lo, v4, v10
	s_delay_alu instid0(VALU_DEP_2)
	v_add_co_ci_u32_e32 v11, vcc_lo, v5, v11, vcc_lo
	global_load_b64 v[10:11], v[10:11], off offset:1536
	s_waitcnt vmcnt(0)
	v_cmp_gt_f64_e32 vcc_lo, 0, v[10:11]
	v_xor_b32_e32 v6, 0x80000000, v11
	v_cndmask_b32_e32 v10, v10, v10, vcc_lo
	s_delay_alu instid0(VALU_DEP_2) | instskip(SKIP_1) | instid1(VALU_DEP_1)
	v_cndmask_b32_e32 v11, v11, v6, vcc_lo
	s_waitcnt lgkmcnt(0)
	v_cmp_lt_f64_e32 vcc_lo, s[14:15], v[10:11]
	v_add_co_ci_u32_e32 v3, vcc_lo, 0, v3, vcc_lo
.LBB4_50:
	s_or_b32 exec_lo, exec_lo, s1
	v_or_b32_e32 v6, 3, v9
	s_mov_b32 s1, exec_lo
	s_delay_alu instid0(VALU_DEP_1)
	v_cmpx_gt_i32_e64 s17, v6
	s_cbranch_execz .LBB4_52
; %bb.51:
	v_mad_u64_u32 v[9:10], null, v6, s20, 0
	s_delay_alu instid0(VALU_DEP_1) | instskip(NEXT) | instid1(VALU_DEP_1)
	v_mad_u64_u32 v[11:12], null, v6, s21, v[10:11]
	v_mov_b32_e32 v10, v11
	s_delay_alu instid0(VALU_DEP_1) | instskip(NEXT) | instid1(VALU_DEP_1)
	v_lshlrev_b64 v[9:10], 3, v[9:10]
	v_add_co_u32 v4, vcc_lo, v4, v9
	s_delay_alu instid0(VALU_DEP_2) | instskip(SKIP_4) | instid1(VALU_DEP_1)
	v_add_co_ci_u32_e32 v5, vcc_lo, v5, v10, vcc_lo
	global_load_b64 v[4:5], v[4:5], off offset:1536
	s_waitcnt vmcnt(0)
	v_cmp_gt_f64_e32 vcc_lo, 0, v[4:5]
	v_xor_b32_e32 v6, 0x80000000, v5
	v_dual_cndmask_b32 v5, v5, v6 :: v_dual_cndmask_b32 v4, v4, v4
	s_waitcnt lgkmcnt(0)
	s_delay_alu instid0(VALU_DEP_1)
	v_cmp_lt_f64_e32 vcc_lo, s[14:15], v[4:5]
	v_add_co_ci_u32_e32 v3, vcc_lo, 0, v3, vcc_lo
.LBB4_52:
	s_or_b32 exec_lo, exec_lo, s1
.LBB4_53:
	s_delay_alu instid0(SALU_CYCLE_1)
	s_or_b32 exec_lo, exec_lo, s0
.LBB4_54:
	v_lshlrev_b32_e32 v4, 2, v7
	s_mov_b32 s0, exec_lo
	s_delay_alu instid0(VALU_DEP_1) | instskip(NEXT) | instid1(VALU_DEP_1)
	v_and_or_b32 v5, 0x1fffff00, v4, v8
	v_lshlrev_b32_e32 v5, 2, v5
	ds_store_2addr_stride64_b32 v5, v0, v1 offset1:1
	ds_store_2addr_stride64_b32 v5, v2, v3 offset0:2 offset1:3
	s_waitcnt lgkmcnt(0)
	s_barrier
	buffer_gl0_inv
	v_cmpx_gt_u32_e32 0x100, v7
	s_cbranch_execz .LBB4_57
; %bb.55:
	ds_load_2addr_stride64_b32 v[0:1], v4 offset1:4
	ds_load_2addr_stride64_b32 v[2:3], v4 offset0:8 offset1:12
	ds_load_2addr_stride64_b32 v[5:6], v4 offset0:16 offset1:20
	;; [unrolled: 1-line block ×3, first 2 shown]
	s_waitcnt lgkmcnt(3)
	v_add_nc_u32_e32 v10, v1, v0
	ds_load_2addr_stride64_b32 v[0:1], v4 offset0:32 offset1:36
	s_waitcnt lgkmcnt(3)
	v_add3_u32 v10, v10, v2, v3
	ds_load_2addr_stride64_b32 v[2:3], v4 offset0:40 offset1:44
	s_waitcnt lgkmcnt(3)
	v_add3_u32 v10, v10, v5, v6
	;; [unrolled: 3-line block ×4, first 2 shown]
	s_waitcnt lgkmcnt(2)
	s_delay_alu instid0(VALU_DEP_1) | instskip(SKIP_1) | instid1(VALU_DEP_1)
	v_add3_u32 v0, v0, v2, v3
	s_waitcnt lgkmcnt(1)
	v_add3_u32 v1, v0, v5, v6
	v_or_b32_e32 v0, s7, v7
	s_waitcnt lgkmcnt(0)
	s_delay_alu instid0(VALU_DEP_2) | instskip(NEXT) | instid1(VALU_DEP_2)
	v_add3_u32 v2, v1, v8, v9
	v_cmp_gt_i32_e32 vcc_lo, s16, v0
	ds_store_b32 v4, v2
	s_and_b32 exec_lo, exec_lo, vcc_lo
	s_cbranch_execz .LBB4_57
; %bb.56:
	v_ashrrev_i32_e32 v1, 31, v0
	s_delay_alu instid0(VALU_DEP_1) | instskip(NEXT) | instid1(VALU_DEP_1)
	v_lshlrev_b64 v[0:1], 2, v[0:1]
	v_add_co_u32 v0, vcc_lo, s12, v0
	s_delay_alu instid0(VALU_DEP_2)
	v_add_co_ci_u32_e32 v1, vcc_lo, s13, v1, vcc_lo
	global_store_b32 v[0:1], v2, off
.LBB4_57:
	s_nop 0
	s_sendmsg sendmsg(MSG_DEALLOC_VGPRS)
	s_endpgm
	.section	.rodata,"a",@progbits
	.p2align	6, 0x0
	.amdhsa_kernel _ZN9rocsparseL27prune_dense2csr_nnz_kernel2ILi64ELi16EdEEviiPKT1_lS3_Pi
		.amdhsa_group_segment_fixed_size 16384
		.amdhsa_private_segment_fixed_size 0
		.amdhsa_kernarg_size 296
		.amdhsa_user_sgpr_count 15
		.amdhsa_user_sgpr_dispatch_ptr 0
		.amdhsa_user_sgpr_queue_ptr 0
		.amdhsa_user_sgpr_kernarg_segment_ptr 1
		.amdhsa_user_sgpr_dispatch_id 0
		.amdhsa_user_sgpr_private_segment_size 0
		.amdhsa_wavefront_size32 1
		.amdhsa_uses_dynamic_stack 0
		.amdhsa_enable_private_segment 0
		.amdhsa_system_sgpr_workgroup_id_x 1
		.amdhsa_system_sgpr_workgroup_id_y 0
		.amdhsa_system_sgpr_workgroup_id_z 0
		.amdhsa_system_sgpr_workgroup_info 0
		.amdhsa_system_vgpr_workitem_id 1
		.amdhsa_next_free_vgpr 33
		.amdhsa_next_free_sgpr 24
		.amdhsa_reserve_vcc 1
		.amdhsa_float_round_mode_32 0
		.amdhsa_float_round_mode_16_64 0
		.amdhsa_float_denorm_mode_32 3
		.amdhsa_float_denorm_mode_16_64 3
		.amdhsa_dx10_clamp 1
		.amdhsa_ieee_mode 1
		.amdhsa_fp16_overflow 0
		.amdhsa_workgroup_processor_mode 1
		.amdhsa_memory_ordered 1
		.amdhsa_forward_progress 0
		.amdhsa_shared_vgpr_count 0
		.amdhsa_exception_fp_ieee_invalid_op 0
		.amdhsa_exception_fp_denorm_src 0
		.amdhsa_exception_fp_ieee_div_zero 0
		.amdhsa_exception_fp_ieee_overflow 0
		.amdhsa_exception_fp_ieee_underflow 0
		.amdhsa_exception_fp_ieee_inexact 0
		.amdhsa_exception_int_div_zero 0
	.end_amdhsa_kernel
	.section	.text._ZN9rocsparseL27prune_dense2csr_nnz_kernel2ILi64ELi16EdEEviiPKT1_lS3_Pi,"axG",@progbits,_ZN9rocsparseL27prune_dense2csr_nnz_kernel2ILi64ELi16EdEEviiPKT1_lS3_Pi,comdat
.Lfunc_end4:
	.size	_ZN9rocsparseL27prune_dense2csr_nnz_kernel2ILi64ELi16EdEEviiPKT1_lS3_Pi, .Lfunc_end4-_ZN9rocsparseL27prune_dense2csr_nnz_kernel2ILi64ELi16EdEEviiPKT1_lS3_Pi
                                        ; -- End function
	.section	.AMDGPU.csdata,"",@progbits
; Kernel info:
; codeLenInByte = 4624
; NumSgprs: 26
; NumVgprs: 33
; ScratchSize: 0
; MemoryBound: 0
; FloatMode: 240
; IeeeMode: 1
; LDSByteSize: 16384 bytes/workgroup (compile time only)
; SGPRBlocks: 3
; VGPRBlocks: 4
; NumSGPRsForWavesPerEU: 26
; NumVGPRsForWavesPerEU: 33
; Occupancy: 16
; WaveLimiterHint : 0
; COMPUTE_PGM_RSRC2:SCRATCH_EN: 0
; COMPUTE_PGM_RSRC2:USER_SGPR: 15
; COMPUTE_PGM_RSRC2:TRAP_HANDLER: 0
; COMPUTE_PGM_RSRC2:TGID_X_EN: 1
; COMPUTE_PGM_RSRC2:TGID_Y_EN: 0
; COMPUTE_PGM_RSRC2:TGID_Z_EN: 0
; COMPUTE_PGM_RSRC2:TIDIG_COMP_CNT: 1
	.section	.text._ZN9rocsparseL38prune_dense2csr_kernel2_device_pointerILi16ELi32EfEEv21rocsparse_index_base_iiPKT1_lS4_PS2_PKiPi,"axG",@progbits,_ZN9rocsparseL38prune_dense2csr_kernel2_device_pointerILi16ELi32EfEEv21rocsparse_index_base_iiPKT1_lS4_PS2_PKiPi,comdat
	.globl	_ZN9rocsparseL38prune_dense2csr_kernel2_device_pointerILi16ELi32EfEEv21rocsparse_index_base_iiPKT1_lS4_PS2_PKiPi ; -- Begin function _ZN9rocsparseL38prune_dense2csr_kernel2_device_pointerILi16ELi32EfEEv21rocsparse_index_base_iiPKT1_lS4_PS2_PKiPi
	.p2align	8
	.type	_ZN9rocsparseL38prune_dense2csr_kernel2_device_pointerILi16ELi32EfEEv21rocsparse_index_base_iiPKT1_lS4_PS2_PKiPi,@function
_ZN9rocsparseL38prune_dense2csr_kernel2_device_pointerILi16ELi32EfEEv21rocsparse_index_base_iiPKT1_lS4_PS2_PKiPi: ; @_ZN9rocsparseL38prune_dense2csr_kernel2_device_pointerILi16ELi32EfEEv21rocsparse_index_base_iiPKT1_lS4_PS2_PKiPi
; %bb.0:
	s_load_b128 s[16:19], s[0:1], 0x0
	v_lshrrev_b32_e32 v1, 5, v0
	s_mov_b32 s2, exec_lo
	s_delay_alu instid0(VALU_DEP_1) | instskip(SKIP_1) | instid1(VALU_DEP_1)
	v_lshl_or_b32 v1, s15, 4, v1
	s_waitcnt lgkmcnt(0)
	v_cmpx_gt_i32_e64 s17, v1
	s_cbranch_execz .LBB5_6
; %bb.1:
	v_and_b32_e32 v3, 31, v0
	s_delay_alu instid0(VALU_DEP_1)
	v_cmp_gt_i32_e32 vcc_lo, s18, v3
	s_and_b32 exec_lo, exec_lo, vcc_lo
	s_cbranch_execz .LBB5_6
; %bb.2:
	s_load_b256 s[4:11], s[0:1], 0x18
	v_ashrrev_i32_e32 v2, 31, v1
	s_load_b64 s[2:3], s[0:1], 0x38
	v_xor_b32_e32 v9, 63, v3
	v_mov_b32_e32 v4, 0x7c
	s_delay_alu instid0(VALU_DEP_3) | instskip(SKIP_1) | instid1(VALU_DEP_1)
	v_lshlrev_b64 v[5:6], 2, v[1:2]
	s_waitcnt lgkmcnt(0)
	v_add_co_u32 v0, vcc_lo, s10, v5
	s_delay_alu instid0(VALU_DEP_2)
	v_add_co_ci_u32_e32 v1, vcc_lo, s11, v6, vcc_lo
	s_load_b64 s[10:11], s[0:1], 0x10
	s_load_b32 s1, s[6:7], 0x0
	s_add_u32 s6, s8, -4
	global_load_b32 v2, v[0:1], off
	v_mad_u64_u32 v[0:1], null, s4, v3, 0
	s_addc_u32 s7, s9, -1
	s_add_u32 s8, s2, -4
	s_addc_u32 s9, s3, -1
	s_lshl_b64 s[2:3], s[4:5], 7
	s_mov_b32 s4, 0
	s_waitcnt vmcnt(0)
	s_delay_alu instid0(VALU_DEP_1) | instskip(NEXT) | instid1(VALU_DEP_1)
	v_mad_u64_u32 v[7:8], null, s5, v3, v[1:2]
	v_mov_b32_e32 v1, v7
	s_delay_alu instid0(VALU_DEP_1) | instskip(SKIP_1) | instid1(VALU_DEP_2)
	v_lshlrev_b64 v[7:8], 2, v[0:1]
	v_lshrrev_b64 v[0:1], v9, -1
	v_add_co_u32 v1, vcc_lo, v7, v5
	s_delay_alu instid0(VALU_DEP_3) | instskip(SKIP_2) | instid1(VALU_DEP_3)
	v_add_co_ci_u32_e32 v6, vcc_lo, v8, v6, vcc_lo
	v_subrev_nc_u32_e32 v5, s16, v2
	s_waitcnt lgkmcnt(0)
	v_add_co_u32 v1, vcc_lo, s10, v1
	s_delay_alu instid0(VALU_DEP_3)
	v_add_co_ci_u32_e32 v2, vcc_lo, s11, v6, vcc_lo
	s_set_inst_prefetch_distance 0x1
	s_branch .LBB5_4
	.p2align	6
.LBB5_3:                                ;   in Loop: Header=BB5_4 Depth=1
	s_or_b32 exec_lo, exec_lo, s0
	ds_bpermute_b32 v6, v4, v6
	v_add_nc_u32_e32 v3, 32, v3
	v_add_co_u32 v1, s0, v1, s2
	s_delay_alu instid0(VALU_DEP_1) | instskip(NEXT) | instid1(VALU_DEP_3)
	v_add_co_ci_u32_e64 v2, s0, s3, v2, s0
	v_cmp_le_i32_e32 vcc_lo, s18, v3
	s_or_b32 s4, vcc_lo, s4
	s_waitcnt lgkmcnt(0)
	v_add_nc_u32_e32 v5, v6, v5
	s_and_not1_b32 exec_lo, exec_lo, s4
	s_cbranch_execz .LBB5_6
.LBB5_4:                                ; =>This Inner Loop Header: Depth=1
	s_waitcnt_vscnt null, 0x0
	s_barrier
	buffer_gl0_inv
	global_load_b32 v7, v[1:2], off
	s_waitcnt vmcnt(0)
	v_cmp_gt_f32_e32 vcc_lo, 0, v7
	v_cndmask_b32_e64 v6, v7, -v7, vcc_lo
	s_delay_alu instid0(VALU_DEP_1) | instskip(SKIP_1) | instid1(VALU_DEP_1)
	v_cmp_lt_f32_e32 vcc_lo, s1, v6
	v_and_b32_e32 v6, vcc_lo, v0
	v_bcnt_u32_b32 v6, v6, 0
	s_and_saveexec_b32 s0, vcc_lo
	s_cbranch_execz .LBB5_3
; %bb.5:                                ;   in Loop: Header=BB5_4 Depth=1
	v_ashrrev_i32_e32 v9, 31, v5
	s_delay_alu instid0(VALU_DEP_2) | instskip(SKIP_1) | instid1(VALU_DEP_3)
	v_add_co_u32 v8, vcc_lo, v5, v6
	v_add_nc_u32_e32 v12, s16, v3
	v_add_co_ci_u32_e32 v9, vcc_lo, 0, v9, vcc_lo
	s_delay_alu instid0(VALU_DEP_1) | instskip(NEXT) | instid1(VALU_DEP_1)
	v_lshlrev_b64 v[8:9], 2, v[8:9]
	v_add_co_u32 v10, vcc_lo, s6, v8
	s_delay_alu instid0(VALU_DEP_2)
	v_add_co_ci_u32_e32 v11, vcc_lo, s7, v9, vcc_lo
	v_add_co_u32 v8, vcc_lo, s8, v8
	v_add_co_ci_u32_e32 v9, vcc_lo, s9, v9, vcc_lo
	global_store_b32 v[10:11], v7, off
	global_store_b32 v[8:9], v12, off
	s_branch .LBB5_3
.LBB5_6:
	s_set_inst_prefetch_distance 0x2
	s_nop 0
	s_sendmsg sendmsg(MSG_DEALLOC_VGPRS)
	s_endpgm
	.section	.rodata,"a",@progbits
	.p2align	6, 0x0
	.amdhsa_kernel _ZN9rocsparseL38prune_dense2csr_kernel2_device_pointerILi16ELi32EfEEv21rocsparse_index_base_iiPKT1_lS4_PS2_PKiPi
		.amdhsa_group_segment_fixed_size 0
		.amdhsa_private_segment_fixed_size 0
		.amdhsa_kernarg_size 64
		.amdhsa_user_sgpr_count 15
		.amdhsa_user_sgpr_dispatch_ptr 0
		.amdhsa_user_sgpr_queue_ptr 0
		.amdhsa_user_sgpr_kernarg_segment_ptr 1
		.amdhsa_user_sgpr_dispatch_id 0
		.amdhsa_user_sgpr_private_segment_size 0
		.amdhsa_wavefront_size32 1
		.amdhsa_uses_dynamic_stack 0
		.amdhsa_enable_private_segment 0
		.amdhsa_system_sgpr_workgroup_id_x 1
		.amdhsa_system_sgpr_workgroup_id_y 0
		.amdhsa_system_sgpr_workgroup_id_z 0
		.amdhsa_system_sgpr_workgroup_info 0
		.amdhsa_system_vgpr_workitem_id 0
		.amdhsa_next_free_vgpr 13
		.amdhsa_next_free_sgpr 20
		.amdhsa_reserve_vcc 1
		.amdhsa_float_round_mode_32 0
		.amdhsa_float_round_mode_16_64 0
		.amdhsa_float_denorm_mode_32 3
		.amdhsa_float_denorm_mode_16_64 3
		.amdhsa_dx10_clamp 1
		.amdhsa_ieee_mode 1
		.amdhsa_fp16_overflow 0
		.amdhsa_workgroup_processor_mode 1
		.amdhsa_memory_ordered 1
		.amdhsa_forward_progress 0
		.amdhsa_shared_vgpr_count 0
		.amdhsa_exception_fp_ieee_invalid_op 0
		.amdhsa_exception_fp_denorm_src 0
		.amdhsa_exception_fp_ieee_div_zero 0
		.amdhsa_exception_fp_ieee_overflow 0
		.amdhsa_exception_fp_ieee_underflow 0
		.amdhsa_exception_fp_ieee_inexact 0
		.amdhsa_exception_int_div_zero 0
	.end_amdhsa_kernel
	.section	.text._ZN9rocsparseL38prune_dense2csr_kernel2_device_pointerILi16ELi32EfEEv21rocsparse_index_base_iiPKT1_lS4_PS2_PKiPi,"axG",@progbits,_ZN9rocsparseL38prune_dense2csr_kernel2_device_pointerILi16ELi32EfEEv21rocsparse_index_base_iiPKT1_lS4_PS2_PKiPi,comdat
.Lfunc_end5:
	.size	_ZN9rocsparseL38prune_dense2csr_kernel2_device_pointerILi16ELi32EfEEv21rocsparse_index_base_iiPKT1_lS4_PS2_PKiPi, .Lfunc_end5-_ZN9rocsparseL38prune_dense2csr_kernel2_device_pointerILi16ELi32EfEEv21rocsparse_index_base_iiPKT1_lS4_PS2_PKiPi
                                        ; -- End function
	.section	.AMDGPU.csdata,"",@progbits
; Kernel info:
; codeLenInByte = 500
; NumSgprs: 22
; NumVgprs: 13
; ScratchSize: 0
; MemoryBound: 0
; FloatMode: 240
; IeeeMode: 1
; LDSByteSize: 0 bytes/workgroup (compile time only)
; SGPRBlocks: 2
; VGPRBlocks: 1
; NumSGPRsForWavesPerEU: 22
; NumVGPRsForWavesPerEU: 13
; Occupancy: 16
; WaveLimiterHint : 0
; COMPUTE_PGM_RSRC2:SCRATCH_EN: 0
; COMPUTE_PGM_RSRC2:USER_SGPR: 15
; COMPUTE_PGM_RSRC2:TRAP_HANDLER: 0
; COMPUTE_PGM_RSRC2:TGID_X_EN: 1
; COMPUTE_PGM_RSRC2:TGID_Y_EN: 0
; COMPUTE_PGM_RSRC2:TGID_Z_EN: 0
; COMPUTE_PGM_RSRC2:TIDIG_COMP_CNT: 0
	.section	.text._ZN9rocsparseL38prune_dense2csr_kernel2_device_pointerILi16ELi64EfEEv21rocsparse_index_base_iiPKT1_lS4_PS2_PKiPi,"axG",@progbits,_ZN9rocsparseL38prune_dense2csr_kernel2_device_pointerILi16ELi64EfEEv21rocsparse_index_base_iiPKT1_lS4_PS2_PKiPi,comdat
	.globl	_ZN9rocsparseL38prune_dense2csr_kernel2_device_pointerILi16ELi64EfEEv21rocsparse_index_base_iiPKT1_lS4_PS2_PKiPi ; -- Begin function _ZN9rocsparseL38prune_dense2csr_kernel2_device_pointerILi16ELi64EfEEv21rocsparse_index_base_iiPKT1_lS4_PS2_PKiPi
	.p2align	8
	.type	_ZN9rocsparseL38prune_dense2csr_kernel2_device_pointerILi16ELi64EfEEv21rocsparse_index_base_iiPKT1_lS4_PS2_PKiPi,@function
_ZN9rocsparseL38prune_dense2csr_kernel2_device_pointerILi16ELi64EfEEv21rocsparse_index_base_iiPKT1_lS4_PS2_PKiPi: ; @_ZN9rocsparseL38prune_dense2csr_kernel2_device_pointerILi16ELi64EfEEv21rocsparse_index_base_iiPKT1_lS4_PS2_PKiPi
; %bb.0:
	s_load_b128 s[16:19], s[0:1], 0x0
	v_lshrrev_b32_e32 v1, 6, v0
	s_mov_b32 s2, exec_lo
	s_delay_alu instid0(VALU_DEP_1) | instskip(SKIP_1) | instid1(VALU_DEP_1)
	v_lshl_or_b32 v1, s15, 4, v1
	s_waitcnt lgkmcnt(0)
	v_cmpx_gt_i32_e64 s17, v1
	s_cbranch_execz .LBB6_6
; %bb.1:
	v_and_b32_e32 v3, 63, v0
	s_delay_alu instid0(VALU_DEP_1)
	v_cmp_gt_i32_e32 vcc_lo, s18, v3
	s_and_b32 exec_lo, exec_lo, vcc_lo
	s_cbranch_execz .LBB6_6
; %bb.2:
	s_load_b256 s[4:11], s[0:1], 0x18
	v_ashrrev_i32_e32 v2, 31, v1
	s_load_b64 s[2:3], s[0:1], 0x38
	v_xor_b32_e32 v9, 63, v3
	v_mov_b32_e32 v4, 0x7c
	s_delay_alu instid0(VALU_DEP_3) | instskip(SKIP_1) | instid1(VALU_DEP_1)
	v_lshlrev_b64 v[5:6], 2, v[1:2]
	s_waitcnt lgkmcnt(0)
	v_add_co_u32 v0, vcc_lo, s10, v5
	s_delay_alu instid0(VALU_DEP_2)
	v_add_co_ci_u32_e32 v1, vcc_lo, s11, v6, vcc_lo
	s_load_b64 s[10:11], s[0:1], 0x10
	s_load_b32 s1, s[6:7], 0x0
	s_add_u32 s6, s8, -4
	global_load_b32 v2, v[0:1], off
	v_mad_u64_u32 v[0:1], null, s4, v3, 0
	s_addc_u32 s7, s9, -1
	s_add_u32 s8, s2, -4
	s_addc_u32 s9, s3, -1
	s_lshl_b64 s[2:3], s[4:5], 8
	s_mov_b32 s4, 0
	s_waitcnt vmcnt(0)
	s_delay_alu instid0(VALU_DEP_1) | instskip(NEXT) | instid1(VALU_DEP_1)
	v_mad_u64_u32 v[7:8], null, s5, v3, v[1:2]
	v_mov_b32_e32 v1, v7
	s_delay_alu instid0(VALU_DEP_1) | instskip(SKIP_1) | instid1(VALU_DEP_2)
	v_lshlrev_b64 v[7:8], 2, v[0:1]
	v_lshrrev_b64 v[0:1], v9, -1
	v_add_co_u32 v1, vcc_lo, v7, v5
	s_delay_alu instid0(VALU_DEP_3) | instskip(SKIP_2) | instid1(VALU_DEP_3)
	v_add_co_ci_u32_e32 v6, vcc_lo, v8, v6, vcc_lo
	v_subrev_nc_u32_e32 v5, s16, v2
	s_waitcnt lgkmcnt(0)
	v_add_co_u32 v1, vcc_lo, s10, v1
	s_delay_alu instid0(VALU_DEP_3)
	v_add_co_ci_u32_e32 v2, vcc_lo, s11, v6, vcc_lo
	s_set_inst_prefetch_distance 0x1
	s_branch .LBB6_4
	.p2align	6
.LBB6_3:                                ;   in Loop: Header=BB6_4 Depth=1
	s_or_b32 exec_lo, exec_lo, s0
	ds_bpermute_b32 v6, v4, v6
	v_add_nc_u32_e32 v3, 64, v3
	v_add_co_u32 v1, s0, v1, s2
	s_delay_alu instid0(VALU_DEP_1) | instskip(NEXT) | instid1(VALU_DEP_3)
	v_add_co_ci_u32_e64 v2, s0, s3, v2, s0
	v_cmp_le_i32_e32 vcc_lo, s18, v3
	s_or_b32 s4, vcc_lo, s4
	s_waitcnt lgkmcnt(0)
	v_add_nc_u32_e32 v5, v6, v5
	s_and_not1_b32 exec_lo, exec_lo, s4
	s_cbranch_execz .LBB6_6
.LBB6_4:                                ; =>This Inner Loop Header: Depth=1
	s_waitcnt_vscnt null, 0x0
	s_barrier
	buffer_gl0_inv
	global_load_b32 v7, v[1:2], off
	s_waitcnt vmcnt(0)
	v_cmp_gt_f32_e32 vcc_lo, 0, v7
	v_cndmask_b32_e64 v6, v7, -v7, vcc_lo
	s_delay_alu instid0(VALU_DEP_1) | instskip(SKIP_1) | instid1(VALU_DEP_1)
	v_cmp_lt_f32_e32 vcc_lo, s1, v6
	v_and_b32_e32 v6, vcc_lo, v0
	v_bcnt_u32_b32 v6, v6, 0
	s_and_saveexec_b32 s0, vcc_lo
	s_cbranch_execz .LBB6_3
; %bb.5:                                ;   in Loop: Header=BB6_4 Depth=1
	v_ashrrev_i32_e32 v9, 31, v5
	s_delay_alu instid0(VALU_DEP_2) | instskip(SKIP_1) | instid1(VALU_DEP_3)
	v_add_co_u32 v8, vcc_lo, v5, v6
	v_add_nc_u32_e32 v12, s16, v3
	v_add_co_ci_u32_e32 v9, vcc_lo, 0, v9, vcc_lo
	s_delay_alu instid0(VALU_DEP_1) | instskip(NEXT) | instid1(VALU_DEP_1)
	v_lshlrev_b64 v[8:9], 2, v[8:9]
	v_add_co_u32 v10, vcc_lo, s6, v8
	s_delay_alu instid0(VALU_DEP_2)
	v_add_co_ci_u32_e32 v11, vcc_lo, s7, v9, vcc_lo
	v_add_co_u32 v8, vcc_lo, s8, v8
	v_add_co_ci_u32_e32 v9, vcc_lo, s9, v9, vcc_lo
	global_store_b32 v[10:11], v7, off
	global_store_b32 v[8:9], v12, off
	s_branch .LBB6_3
.LBB6_6:
	s_set_inst_prefetch_distance 0x2
	s_nop 0
	s_sendmsg sendmsg(MSG_DEALLOC_VGPRS)
	s_endpgm
	.section	.rodata,"a",@progbits
	.p2align	6, 0x0
	.amdhsa_kernel _ZN9rocsparseL38prune_dense2csr_kernel2_device_pointerILi16ELi64EfEEv21rocsparse_index_base_iiPKT1_lS4_PS2_PKiPi
		.amdhsa_group_segment_fixed_size 0
		.amdhsa_private_segment_fixed_size 0
		.amdhsa_kernarg_size 64
		.amdhsa_user_sgpr_count 15
		.amdhsa_user_sgpr_dispatch_ptr 0
		.amdhsa_user_sgpr_queue_ptr 0
		.amdhsa_user_sgpr_kernarg_segment_ptr 1
		.amdhsa_user_sgpr_dispatch_id 0
		.amdhsa_user_sgpr_private_segment_size 0
		.amdhsa_wavefront_size32 1
		.amdhsa_uses_dynamic_stack 0
		.amdhsa_enable_private_segment 0
		.amdhsa_system_sgpr_workgroup_id_x 1
		.amdhsa_system_sgpr_workgroup_id_y 0
		.amdhsa_system_sgpr_workgroup_id_z 0
		.amdhsa_system_sgpr_workgroup_info 0
		.amdhsa_system_vgpr_workitem_id 0
		.amdhsa_next_free_vgpr 13
		.amdhsa_next_free_sgpr 20
		.amdhsa_reserve_vcc 1
		.amdhsa_float_round_mode_32 0
		.amdhsa_float_round_mode_16_64 0
		.amdhsa_float_denorm_mode_32 3
		.amdhsa_float_denorm_mode_16_64 3
		.amdhsa_dx10_clamp 1
		.amdhsa_ieee_mode 1
		.amdhsa_fp16_overflow 0
		.amdhsa_workgroup_processor_mode 1
		.amdhsa_memory_ordered 1
		.amdhsa_forward_progress 0
		.amdhsa_shared_vgpr_count 0
		.amdhsa_exception_fp_ieee_invalid_op 0
		.amdhsa_exception_fp_denorm_src 0
		.amdhsa_exception_fp_ieee_div_zero 0
		.amdhsa_exception_fp_ieee_overflow 0
		.amdhsa_exception_fp_ieee_underflow 0
		.amdhsa_exception_fp_ieee_inexact 0
		.amdhsa_exception_int_div_zero 0
	.end_amdhsa_kernel
	.section	.text._ZN9rocsparseL38prune_dense2csr_kernel2_device_pointerILi16ELi64EfEEv21rocsparse_index_base_iiPKT1_lS4_PS2_PKiPi,"axG",@progbits,_ZN9rocsparseL38prune_dense2csr_kernel2_device_pointerILi16ELi64EfEEv21rocsparse_index_base_iiPKT1_lS4_PS2_PKiPi,comdat
.Lfunc_end6:
	.size	_ZN9rocsparseL38prune_dense2csr_kernel2_device_pointerILi16ELi64EfEEv21rocsparse_index_base_iiPKT1_lS4_PS2_PKiPi, .Lfunc_end6-_ZN9rocsparseL38prune_dense2csr_kernel2_device_pointerILi16ELi64EfEEv21rocsparse_index_base_iiPKT1_lS4_PS2_PKiPi
                                        ; -- End function
	.section	.AMDGPU.csdata,"",@progbits
; Kernel info:
; codeLenInByte = 500
; NumSgprs: 22
; NumVgprs: 13
; ScratchSize: 0
; MemoryBound: 0
; FloatMode: 240
; IeeeMode: 1
; LDSByteSize: 0 bytes/workgroup (compile time only)
; SGPRBlocks: 2
; VGPRBlocks: 1
; NumSGPRsForWavesPerEU: 22
; NumVGPRsForWavesPerEU: 13
; Occupancy: 16
; WaveLimiterHint : 0
; COMPUTE_PGM_RSRC2:SCRATCH_EN: 0
; COMPUTE_PGM_RSRC2:USER_SGPR: 15
; COMPUTE_PGM_RSRC2:TRAP_HANDLER: 0
; COMPUTE_PGM_RSRC2:TGID_X_EN: 1
; COMPUTE_PGM_RSRC2:TGID_Y_EN: 0
; COMPUTE_PGM_RSRC2:TGID_Z_EN: 0
; COMPUTE_PGM_RSRC2:TIDIG_COMP_CNT: 0
	.section	.text._ZN9rocsparseL38prune_dense2csr_kernel2_device_pointerILi8ELi32EdEEv21rocsparse_index_base_iiPKT1_lS4_PS2_PKiPi,"axG",@progbits,_ZN9rocsparseL38prune_dense2csr_kernel2_device_pointerILi8ELi32EdEEv21rocsparse_index_base_iiPKT1_lS4_PS2_PKiPi,comdat
	.globl	_ZN9rocsparseL38prune_dense2csr_kernel2_device_pointerILi8ELi32EdEEv21rocsparse_index_base_iiPKT1_lS4_PS2_PKiPi ; -- Begin function _ZN9rocsparseL38prune_dense2csr_kernel2_device_pointerILi8ELi32EdEEv21rocsparse_index_base_iiPKT1_lS4_PS2_PKiPi
	.p2align	8
	.type	_ZN9rocsparseL38prune_dense2csr_kernel2_device_pointerILi8ELi32EdEEv21rocsparse_index_base_iiPKT1_lS4_PS2_PKiPi,@function
_ZN9rocsparseL38prune_dense2csr_kernel2_device_pointerILi8ELi32EdEEv21rocsparse_index_base_iiPKT1_lS4_PS2_PKiPi: ; @_ZN9rocsparseL38prune_dense2csr_kernel2_device_pointerILi8ELi32EdEEv21rocsparse_index_base_iiPKT1_lS4_PS2_PKiPi
; %bb.0:
	s_load_b128 s[16:19], s[0:1], 0x0
	v_lshrrev_b32_e32 v1, 5, v0
	s_mov_b32 s2, exec_lo
	s_delay_alu instid0(VALU_DEP_1) | instskip(SKIP_1) | instid1(VALU_DEP_1)
	v_lshl_or_b32 v1, s15, 3, v1
	s_waitcnt lgkmcnt(0)
	v_cmpx_gt_i32_e64 s17, v1
	s_cbranch_execz .LBB7_6
; %bb.1:
	v_and_b32_e32 v5, 31, v0
	s_delay_alu instid0(VALU_DEP_1)
	v_cmp_gt_i32_e32 vcc_lo, s18, v5
	s_and_b32 exec_lo, exec_lo, vcc_lo
	s_cbranch_execz .LBB7_6
; %bb.2:
	s_load_b256 s[4:11], s[0:1], 0x18
	v_ashrrev_i32_e32 v2, 31, v1
	s_load_b64 s[12:13], s[0:1], 0x10
	s_delay_alu instid0(VALU_DEP_1) | instskip(SKIP_1) | instid1(VALU_DEP_1)
	v_lshlrev_b64 v[3:4], 2, v[1:2]
	s_waitcnt lgkmcnt(0)
	v_add_co_u32 v3, vcc_lo, s10, v3
	s_delay_alu instid0(VALU_DEP_2)
	v_add_co_ci_u32_e32 v4, vcc_lo, s11, v4, vcc_lo
	s_load_b64 s[10:11], s[0:1], 0x38
	s_load_b64 s[2:3], s[6:7], 0x0
	s_add_u32 s1, s8, -8
	global_load_b32 v9, v[3:4], off
	v_mad_u64_u32 v[3:4], null, s4, v5, 0
	s_addc_u32 s6, s9, -1
	s_mov_b32 s9, 0
	s_delay_alu instid0(VALU_DEP_1) | instskip(NEXT) | instid1(VALU_DEP_1)
	v_mov_b32_e32 v0, v4
	v_mad_u64_u32 v[6:7], null, s5, v5, v[0:1]
	v_xor_b32_e32 v0, 63, v5
	v_lshlrev_b64 v[7:8], 3, v[1:2]
	s_waitcnt lgkmcnt(0)
	s_add_u32 s7, s10, -4
	s_addc_u32 s8, s11, -1
	s_lshl_b64 s[4:5], s[4:5], 8
	v_lshrrev_b64 v[0:1], v0, -1
	v_mov_b32_e32 v4, v6
	v_mov_b32_e32 v6, 0x7c
	s_delay_alu instid0(VALU_DEP_2) | instskip(NEXT) | instid1(VALU_DEP_1)
	v_lshlrev_b64 v[2:3], 3, v[3:4]
	v_add_co_u32 v1, vcc_lo, v2, v7
	s_delay_alu instid0(VALU_DEP_2) | instskip(NEXT) | instid1(VALU_DEP_2)
	v_add_co_ci_u32_e32 v2, vcc_lo, v3, v8, vcc_lo
	v_add_co_u32 v1, vcc_lo, s12, v1
	s_delay_alu instid0(VALU_DEP_2)
	v_add_co_ci_u32_e32 v2, vcc_lo, s13, v2, vcc_lo
	s_waitcnt vmcnt(0)
	v_subrev_nc_u32_e32 v7, s16, v9
	s_set_inst_prefetch_distance 0x1
	s_branch .LBB7_4
	.p2align	6
.LBB7_3:                                ;   in Loop: Header=BB7_4 Depth=1
	s_or_b32 exec_lo, exec_lo, s0
	ds_bpermute_b32 v3, v6, v8
	v_add_nc_u32_e32 v5, 32, v5
	v_add_co_u32 v1, s0, v1, s4
	s_delay_alu instid0(VALU_DEP_1) | instskip(NEXT) | instid1(VALU_DEP_3)
	v_add_co_ci_u32_e64 v2, s0, s5, v2, s0
	v_cmp_le_i32_e32 vcc_lo, s18, v5
	s_or_b32 s9, vcc_lo, s9
	s_waitcnt lgkmcnt(0)
	v_add_nc_u32_e32 v7, v3, v7
	s_and_not1_b32 exec_lo, exec_lo, s9
	s_cbranch_execz .LBB7_6
.LBB7_4:                                ; =>This Inner Loop Header: Depth=1
	s_waitcnt_vscnt null, 0x0
	s_barrier
	buffer_gl0_inv
	global_load_b64 v[3:4], v[1:2], off
	s_waitcnt vmcnt(0)
	v_cmp_gt_f64_e32 vcc_lo, 0, v[3:4]
	v_xor_b32_e32 v8, 0x80000000, v4
	s_delay_alu instid0(VALU_DEP_1) | instskip(NEXT) | instid1(VALU_DEP_1)
	v_dual_cndmask_b32 v9, v4, v8 :: v_dual_cndmask_b32 v8, v3, v3
	v_cmp_lt_f64_e32 vcc_lo, s[2:3], v[8:9]
	v_and_b32_e32 v8, vcc_lo, v0
	s_delay_alu instid0(VALU_DEP_1)
	v_bcnt_u32_b32 v8, v8, 0
	s_and_saveexec_b32 s0, vcc_lo
	s_cbranch_execz .LBB7_3
; %bb.5:                                ;   in Loop: Header=BB7_4 Depth=1
	v_ashrrev_i32_e32 v10, 31, v7
	s_delay_alu instid0(VALU_DEP_2) | instskip(SKIP_1) | instid1(VALU_DEP_3)
	v_add_co_u32 v9, vcc_lo, v7, v8
	v_add_nc_u32_e32 v13, s16, v5
	v_add_co_ci_u32_e32 v10, vcc_lo, 0, v10, vcc_lo
	s_delay_alu instid0(VALU_DEP_1) | instskip(SKIP_1) | instid1(VALU_DEP_2)
	v_lshlrev_b64 v[11:12], 3, v[9:10]
	v_lshlrev_b64 v[9:10], 2, v[9:10]
	v_add_co_u32 v11, vcc_lo, s1, v11
	s_delay_alu instid0(VALU_DEP_3) | instskip(NEXT) | instid1(VALU_DEP_3)
	v_add_co_ci_u32_e32 v12, vcc_lo, s6, v12, vcc_lo
	v_add_co_u32 v9, vcc_lo, s7, v9
	s_delay_alu instid0(VALU_DEP_4)
	v_add_co_ci_u32_e32 v10, vcc_lo, s8, v10, vcc_lo
	global_store_b64 v[11:12], v[3:4], off
	global_store_b32 v[9:10], v13, off
	s_branch .LBB7_3
.LBB7_6:
	s_set_inst_prefetch_distance 0x2
	s_nop 0
	s_sendmsg sendmsg(MSG_DEALLOC_VGPRS)
	s_endpgm
	.section	.rodata,"a",@progbits
	.p2align	6, 0x0
	.amdhsa_kernel _ZN9rocsparseL38prune_dense2csr_kernel2_device_pointerILi8ELi32EdEEv21rocsparse_index_base_iiPKT1_lS4_PS2_PKiPi
		.amdhsa_group_segment_fixed_size 0
		.amdhsa_private_segment_fixed_size 0
		.amdhsa_kernarg_size 64
		.amdhsa_user_sgpr_count 15
		.amdhsa_user_sgpr_dispatch_ptr 0
		.amdhsa_user_sgpr_queue_ptr 0
		.amdhsa_user_sgpr_kernarg_segment_ptr 1
		.amdhsa_user_sgpr_dispatch_id 0
		.amdhsa_user_sgpr_private_segment_size 0
		.amdhsa_wavefront_size32 1
		.amdhsa_uses_dynamic_stack 0
		.amdhsa_enable_private_segment 0
		.amdhsa_system_sgpr_workgroup_id_x 1
		.amdhsa_system_sgpr_workgroup_id_y 0
		.amdhsa_system_sgpr_workgroup_id_z 0
		.amdhsa_system_sgpr_workgroup_info 0
		.amdhsa_system_vgpr_workitem_id 0
		.amdhsa_next_free_vgpr 14
		.amdhsa_next_free_sgpr 20
		.amdhsa_reserve_vcc 1
		.amdhsa_float_round_mode_32 0
		.amdhsa_float_round_mode_16_64 0
		.amdhsa_float_denorm_mode_32 3
		.amdhsa_float_denorm_mode_16_64 3
		.amdhsa_dx10_clamp 1
		.amdhsa_ieee_mode 1
		.amdhsa_fp16_overflow 0
		.amdhsa_workgroup_processor_mode 1
		.amdhsa_memory_ordered 1
		.amdhsa_forward_progress 0
		.amdhsa_shared_vgpr_count 0
		.amdhsa_exception_fp_ieee_invalid_op 0
		.amdhsa_exception_fp_denorm_src 0
		.amdhsa_exception_fp_ieee_div_zero 0
		.amdhsa_exception_fp_ieee_overflow 0
		.amdhsa_exception_fp_ieee_underflow 0
		.amdhsa_exception_fp_ieee_inexact 0
		.amdhsa_exception_int_div_zero 0
	.end_amdhsa_kernel
	.section	.text._ZN9rocsparseL38prune_dense2csr_kernel2_device_pointerILi8ELi32EdEEv21rocsparse_index_base_iiPKT1_lS4_PS2_PKiPi,"axG",@progbits,_ZN9rocsparseL38prune_dense2csr_kernel2_device_pointerILi8ELi32EdEEv21rocsparse_index_base_iiPKT1_lS4_PS2_PKiPi,comdat
.Lfunc_end7:
	.size	_ZN9rocsparseL38prune_dense2csr_kernel2_device_pointerILi8ELi32EdEEv21rocsparse_index_base_iiPKT1_lS4_PS2_PKiPi, .Lfunc_end7-_ZN9rocsparseL38prune_dense2csr_kernel2_device_pointerILi8ELi32EdEEv21rocsparse_index_base_iiPKT1_lS4_PS2_PKiPi
                                        ; -- End function
	.section	.AMDGPU.csdata,"",@progbits
; Kernel info:
; codeLenInByte = 536
; NumSgprs: 22
; NumVgprs: 14
; ScratchSize: 0
; MemoryBound: 0
; FloatMode: 240
; IeeeMode: 1
; LDSByteSize: 0 bytes/workgroup (compile time only)
; SGPRBlocks: 2
; VGPRBlocks: 1
; NumSGPRsForWavesPerEU: 22
; NumVGPRsForWavesPerEU: 14
; Occupancy: 16
; WaveLimiterHint : 0
; COMPUTE_PGM_RSRC2:SCRATCH_EN: 0
; COMPUTE_PGM_RSRC2:USER_SGPR: 15
; COMPUTE_PGM_RSRC2:TRAP_HANDLER: 0
; COMPUTE_PGM_RSRC2:TGID_X_EN: 1
; COMPUTE_PGM_RSRC2:TGID_Y_EN: 0
; COMPUTE_PGM_RSRC2:TGID_Z_EN: 0
; COMPUTE_PGM_RSRC2:TIDIG_COMP_CNT: 0
	.section	.text._ZN9rocsparseL38prune_dense2csr_kernel2_device_pointerILi8ELi64EdEEv21rocsparse_index_base_iiPKT1_lS4_PS2_PKiPi,"axG",@progbits,_ZN9rocsparseL38prune_dense2csr_kernel2_device_pointerILi8ELi64EdEEv21rocsparse_index_base_iiPKT1_lS4_PS2_PKiPi,comdat
	.globl	_ZN9rocsparseL38prune_dense2csr_kernel2_device_pointerILi8ELi64EdEEv21rocsparse_index_base_iiPKT1_lS4_PS2_PKiPi ; -- Begin function _ZN9rocsparseL38prune_dense2csr_kernel2_device_pointerILi8ELi64EdEEv21rocsparse_index_base_iiPKT1_lS4_PS2_PKiPi
	.p2align	8
	.type	_ZN9rocsparseL38prune_dense2csr_kernel2_device_pointerILi8ELi64EdEEv21rocsparse_index_base_iiPKT1_lS4_PS2_PKiPi,@function
_ZN9rocsparseL38prune_dense2csr_kernel2_device_pointerILi8ELi64EdEEv21rocsparse_index_base_iiPKT1_lS4_PS2_PKiPi: ; @_ZN9rocsparseL38prune_dense2csr_kernel2_device_pointerILi8ELi64EdEEv21rocsparse_index_base_iiPKT1_lS4_PS2_PKiPi
; %bb.0:
	s_load_b128 s[16:19], s[0:1], 0x0
	v_lshrrev_b32_e32 v1, 6, v0
	s_mov_b32 s2, exec_lo
	s_delay_alu instid0(VALU_DEP_1) | instskip(SKIP_1) | instid1(VALU_DEP_1)
	v_lshl_or_b32 v1, s15, 3, v1
	s_waitcnt lgkmcnt(0)
	v_cmpx_gt_i32_e64 s17, v1
	s_cbranch_execz .LBB8_6
; %bb.1:
	v_and_b32_e32 v5, 63, v0
	s_delay_alu instid0(VALU_DEP_1)
	v_cmp_gt_i32_e32 vcc_lo, s18, v5
	s_and_b32 exec_lo, exec_lo, vcc_lo
	s_cbranch_execz .LBB8_6
; %bb.2:
	s_load_b256 s[4:11], s[0:1], 0x18
	v_ashrrev_i32_e32 v2, 31, v1
	s_load_b64 s[12:13], s[0:1], 0x10
	s_delay_alu instid0(VALU_DEP_1) | instskip(SKIP_1) | instid1(VALU_DEP_1)
	v_lshlrev_b64 v[3:4], 2, v[1:2]
	s_waitcnt lgkmcnt(0)
	v_add_co_u32 v3, vcc_lo, s10, v3
	s_delay_alu instid0(VALU_DEP_2)
	v_add_co_ci_u32_e32 v4, vcc_lo, s11, v4, vcc_lo
	s_load_b64 s[10:11], s[0:1], 0x38
	s_load_b64 s[2:3], s[6:7], 0x0
	s_add_u32 s1, s8, -8
	global_load_b32 v9, v[3:4], off
	v_mad_u64_u32 v[3:4], null, s4, v5, 0
	s_addc_u32 s6, s9, -1
	s_mov_b32 s9, 0
	s_delay_alu instid0(VALU_DEP_1) | instskip(NEXT) | instid1(VALU_DEP_1)
	v_mov_b32_e32 v0, v4
	v_mad_u64_u32 v[6:7], null, s5, v5, v[0:1]
	v_xor_b32_e32 v0, 63, v5
	v_lshlrev_b64 v[7:8], 3, v[1:2]
	s_waitcnt lgkmcnt(0)
	s_add_u32 s7, s10, -4
	s_addc_u32 s8, s11, -1
	s_lshl_b64 s[4:5], s[4:5], 9
	v_lshrrev_b64 v[0:1], v0, -1
	v_mov_b32_e32 v4, v6
	v_mov_b32_e32 v6, 0x7c
	s_delay_alu instid0(VALU_DEP_2) | instskip(NEXT) | instid1(VALU_DEP_1)
	v_lshlrev_b64 v[2:3], 3, v[3:4]
	v_add_co_u32 v1, vcc_lo, v2, v7
	s_delay_alu instid0(VALU_DEP_2) | instskip(NEXT) | instid1(VALU_DEP_2)
	v_add_co_ci_u32_e32 v2, vcc_lo, v3, v8, vcc_lo
	v_add_co_u32 v1, vcc_lo, s12, v1
	s_delay_alu instid0(VALU_DEP_2)
	v_add_co_ci_u32_e32 v2, vcc_lo, s13, v2, vcc_lo
	s_waitcnt vmcnt(0)
	v_subrev_nc_u32_e32 v7, s16, v9
	s_set_inst_prefetch_distance 0x1
	s_branch .LBB8_4
	.p2align	6
.LBB8_3:                                ;   in Loop: Header=BB8_4 Depth=1
	s_or_b32 exec_lo, exec_lo, s0
	ds_bpermute_b32 v3, v6, v8
	v_add_nc_u32_e32 v5, 64, v5
	v_add_co_u32 v1, s0, v1, s4
	s_delay_alu instid0(VALU_DEP_1) | instskip(NEXT) | instid1(VALU_DEP_3)
	v_add_co_ci_u32_e64 v2, s0, s5, v2, s0
	v_cmp_le_i32_e32 vcc_lo, s18, v5
	s_or_b32 s9, vcc_lo, s9
	s_waitcnt lgkmcnt(0)
	v_add_nc_u32_e32 v7, v3, v7
	s_and_not1_b32 exec_lo, exec_lo, s9
	s_cbranch_execz .LBB8_6
.LBB8_4:                                ; =>This Inner Loop Header: Depth=1
	s_waitcnt_vscnt null, 0x0
	s_barrier
	buffer_gl0_inv
	global_load_b64 v[3:4], v[1:2], off
	s_waitcnt vmcnt(0)
	v_cmp_gt_f64_e32 vcc_lo, 0, v[3:4]
	v_xor_b32_e32 v8, 0x80000000, v4
	s_delay_alu instid0(VALU_DEP_1) | instskip(NEXT) | instid1(VALU_DEP_1)
	v_dual_cndmask_b32 v9, v4, v8 :: v_dual_cndmask_b32 v8, v3, v3
	v_cmp_lt_f64_e32 vcc_lo, s[2:3], v[8:9]
	v_and_b32_e32 v8, vcc_lo, v0
	s_delay_alu instid0(VALU_DEP_1)
	v_bcnt_u32_b32 v8, v8, 0
	s_and_saveexec_b32 s0, vcc_lo
	s_cbranch_execz .LBB8_3
; %bb.5:                                ;   in Loop: Header=BB8_4 Depth=1
	v_ashrrev_i32_e32 v10, 31, v7
	s_delay_alu instid0(VALU_DEP_2) | instskip(SKIP_1) | instid1(VALU_DEP_3)
	v_add_co_u32 v9, vcc_lo, v7, v8
	v_add_nc_u32_e32 v13, s16, v5
	v_add_co_ci_u32_e32 v10, vcc_lo, 0, v10, vcc_lo
	s_delay_alu instid0(VALU_DEP_1) | instskip(SKIP_1) | instid1(VALU_DEP_2)
	v_lshlrev_b64 v[11:12], 3, v[9:10]
	v_lshlrev_b64 v[9:10], 2, v[9:10]
	v_add_co_u32 v11, vcc_lo, s1, v11
	s_delay_alu instid0(VALU_DEP_3) | instskip(NEXT) | instid1(VALU_DEP_3)
	v_add_co_ci_u32_e32 v12, vcc_lo, s6, v12, vcc_lo
	v_add_co_u32 v9, vcc_lo, s7, v9
	s_delay_alu instid0(VALU_DEP_4)
	v_add_co_ci_u32_e32 v10, vcc_lo, s8, v10, vcc_lo
	global_store_b64 v[11:12], v[3:4], off
	global_store_b32 v[9:10], v13, off
	s_branch .LBB8_3
.LBB8_6:
	s_set_inst_prefetch_distance 0x2
	s_nop 0
	s_sendmsg sendmsg(MSG_DEALLOC_VGPRS)
	s_endpgm
	.section	.rodata,"a",@progbits
	.p2align	6, 0x0
	.amdhsa_kernel _ZN9rocsparseL38prune_dense2csr_kernel2_device_pointerILi8ELi64EdEEv21rocsparse_index_base_iiPKT1_lS4_PS2_PKiPi
		.amdhsa_group_segment_fixed_size 0
		.amdhsa_private_segment_fixed_size 0
		.amdhsa_kernarg_size 64
		.amdhsa_user_sgpr_count 15
		.amdhsa_user_sgpr_dispatch_ptr 0
		.amdhsa_user_sgpr_queue_ptr 0
		.amdhsa_user_sgpr_kernarg_segment_ptr 1
		.amdhsa_user_sgpr_dispatch_id 0
		.amdhsa_user_sgpr_private_segment_size 0
		.amdhsa_wavefront_size32 1
		.amdhsa_uses_dynamic_stack 0
		.amdhsa_enable_private_segment 0
		.amdhsa_system_sgpr_workgroup_id_x 1
		.amdhsa_system_sgpr_workgroup_id_y 0
		.amdhsa_system_sgpr_workgroup_id_z 0
		.amdhsa_system_sgpr_workgroup_info 0
		.amdhsa_system_vgpr_workitem_id 0
		.amdhsa_next_free_vgpr 14
		.amdhsa_next_free_sgpr 20
		.amdhsa_reserve_vcc 1
		.amdhsa_float_round_mode_32 0
		.amdhsa_float_round_mode_16_64 0
		.amdhsa_float_denorm_mode_32 3
		.amdhsa_float_denorm_mode_16_64 3
		.amdhsa_dx10_clamp 1
		.amdhsa_ieee_mode 1
		.amdhsa_fp16_overflow 0
		.amdhsa_workgroup_processor_mode 1
		.amdhsa_memory_ordered 1
		.amdhsa_forward_progress 0
		.amdhsa_shared_vgpr_count 0
		.amdhsa_exception_fp_ieee_invalid_op 0
		.amdhsa_exception_fp_denorm_src 0
		.amdhsa_exception_fp_ieee_div_zero 0
		.amdhsa_exception_fp_ieee_overflow 0
		.amdhsa_exception_fp_ieee_underflow 0
		.amdhsa_exception_fp_ieee_inexact 0
		.amdhsa_exception_int_div_zero 0
	.end_amdhsa_kernel
	.section	.text._ZN9rocsparseL38prune_dense2csr_kernel2_device_pointerILi8ELi64EdEEv21rocsparse_index_base_iiPKT1_lS4_PS2_PKiPi,"axG",@progbits,_ZN9rocsparseL38prune_dense2csr_kernel2_device_pointerILi8ELi64EdEEv21rocsparse_index_base_iiPKT1_lS4_PS2_PKiPi,comdat
.Lfunc_end8:
	.size	_ZN9rocsparseL38prune_dense2csr_kernel2_device_pointerILi8ELi64EdEEv21rocsparse_index_base_iiPKT1_lS4_PS2_PKiPi, .Lfunc_end8-_ZN9rocsparseL38prune_dense2csr_kernel2_device_pointerILi8ELi64EdEEv21rocsparse_index_base_iiPKT1_lS4_PS2_PKiPi
                                        ; -- End function
	.section	.AMDGPU.csdata,"",@progbits
; Kernel info:
; codeLenInByte = 536
; NumSgprs: 22
; NumVgprs: 14
; ScratchSize: 0
; MemoryBound: 0
; FloatMode: 240
; IeeeMode: 1
; LDSByteSize: 0 bytes/workgroup (compile time only)
; SGPRBlocks: 2
; VGPRBlocks: 1
; NumSGPRsForWavesPerEU: 22
; NumVGPRsForWavesPerEU: 14
; Occupancy: 16
; WaveLimiterHint : 0
; COMPUTE_PGM_RSRC2:SCRATCH_EN: 0
; COMPUTE_PGM_RSRC2:USER_SGPR: 15
; COMPUTE_PGM_RSRC2:TRAP_HANDLER: 0
; COMPUTE_PGM_RSRC2:TGID_X_EN: 1
; COMPUTE_PGM_RSRC2:TGID_Y_EN: 0
; COMPUTE_PGM_RSRC2:TGID_Z_EN: 0
; COMPUTE_PGM_RSRC2:TIDIG_COMP_CNT: 0
	.text
	.p2alignl 7, 3214868480
	.fill 96, 4, 3214868480
	.type	__hip_cuid_de84b4dc7ca5a366,@object ; @__hip_cuid_de84b4dc7ca5a366
	.section	.bss,"aw",@nobits
	.globl	__hip_cuid_de84b4dc7ca5a366
__hip_cuid_de84b4dc7ca5a366:
	.byte	0                               ; 0x0
	.size	__hip_cuid_de84b4dc7ca5a366, 1

	.ident	"AMD clang version 19.0.0git (https://github.com/RadeonOpenCompute/llvm-project roc-6.4.0 25133 c7fe45cf4b819c5991fe208aaa96edf142730f1d)"
	.section	".note.GNU-stack","",@progbits
	.addrsig
	.addrsig_sym __hip_cuid_de84b4dc7ca5a366
	.amdgpu_metadata
---
amdhsa.kernels:
  - .args:
      - .offset:         0
        .size:           4
        .value_kind:     by_value
      - .actual_access:  read_only
        .address_space:  global
        .offset:         8
        .size:           8
        .value_kind:     global_buffer
      - .actual_access:  write_only
        .address_space:  global
        .offset:         16
        .size:           8
        .value_kind:     global_buffer
    .group_segment_fixed_size: 0
    .kernarg_segment_align: 8
    .kernarg_segment_size: 24
    .language:       OpenCL C
    .language_version:
      - 2
      - 0
    .max_flat_workgroup_size: 1
    .name:           _ZN9rocsparseL23nnz_total_device_kernelEiPKiPi
    .private_segment_fixed_size: 0
    .sgpr_count:     6
    .sgpr_spill_count: 0
    .symbol:         _ZN9rocsparseL23nnz_total_device_kernelEiPKiPi.kd
    .uniform_work_group_size: 1
    .uses_dynamic_stack: false
    .vgpr_count:     2
    .vgpr_spill_count: 0
    .wavefront_size: 32
    .workgroup_processor_mode: 1
  - .args:
      - .offset:         0
        .size:           4
        .value_kind:     by_value
      - .offset:         4
        .size:           4
        .value_kind:     by_value
      - .address_space:  global
        .offset:         8
        .size:           8
        .value_kind:     global_buffer
      - .offset:         16
        .size:           8
        .value_kind:     by_value
      - .address_space:  global
        .offset:         24
        .size:           8
        .value_kind:     global_buffer
    .group_segment_fixed_size: 0
    .kernarg_segment_align: 8
    .kernarg_segment_size: 32
    .language:       OpenCL C
    .language_version:
      - 2
      - 0
    .max_flat_workgroup_size: 256
    .name:           _ZN9rocsparseL10abs_kernelILi256EfEEviiPKT0_lPS1_
    .private_segment_fixed_size: 0
    .sgpr_count:     18
    .sgpr_spill_count: 0
    .symbol:         _ZN9rocsparseL10abs_kernelILi256EfEEviiPKT0_lPS1_.kd
    .uniform_work_group_size: 1
    .uses_dynamic_stack: false
    .vgpr_count:     7
    .vgpr_spill_count: 0
    .wavefront_size: 32
    .workgroup_processor_mode: 1
  - .args:
      - .offset:         0
        .size:           4
        .value_kind:     by_value
      - .offset:         4
        .size:           4
        .value_kind:     by_value
      - .actual_access:  read_only
        .address_space:  global
        .offset:         8
        .size:           8
        .value_kind:     global_buffer
      - .offset:         16
        .size:           8
        .value_kind:     by_value
      - .address_space:  global
        .offset:         24
        .size:           8
        .value_kind:     global_buffer
      - .actual_access:  write_only
        .address_space:  global
        .offset:         32
        .size:           8
        .value_kind:     global_buffer
      - .offset:         40
        .size:           4
        .value_kind:     hidden_block_count_x
      - .offset:         44
        .size:           4
        .value_kind:     hidden_block_count_y
      - .offset:         48
        .size:           4
        .value_kind:     hidden_block_count_z
      - .offset:         52
        .size:           2
        .value_kind:     hidden_group_size_x
      - .offset:         54
        .size:           2
        .value_kind:     hidden_group_size_y
      - .offset:         56
        .size:           2
        .value_kind:     hidden_group_size_z
      - .offset:         58
        .size:           2
        .value_kind:     hidden_remainder_x
      - .offset:         60
        .size:           2
        .value_kind:     hidden_remainder_y
      - .offset:         62
        .size:           2
        .value_kind:     hidden_remainder_z
      - .offset:         80
        .size:           8
        .value_kind:     hidden_global_offset_x
      - .offset:         88
        .size:           8
        .value_kind:     hidden_global_offset_y
      - .offset:         96
        .size:           8
        .value_kind:     hidden_global_offset_z
      - .offset:         104
        .size:           2
        .value_kind:     hidden_grid_dims
    .group_segment_fixed_size: 16384
    .kernarg_segment_align: 8
    .kernarg_segment_size: 296
    .language:       OpenCL C
    .language_version:
      - 2
      - 0
    .max_flat_workgroup_size: 1024
    .name:           _ZN9rocsparseL27prune_dense2csr_nnz_kernel2ILi64ELi16EfEEviiPKT1_lS3_Pi
    .private_segment_fixed_size: 0
    .sgpr_count:     26
    .sgpr_spill_count: 0
    .symbol:         _ZN9rocsparseL27prune_dense2csr_nnz_kernel2ILi64ELi16EfEEviiPKT1_lS3_Pi.kd
    .uniform_work_group_size: 1
    .uses_dynamic_stack: false
    .vgpr_count:     27
    .vgpr_spill_count: 0
    .wavefront_size: 32
    .workgroup_processor_mode: 1
  - .args:
      - .offset:         0
        .size:           4
        .value_kind:     by_value
      - .offset:         4
        .size:           4
        .value_kind:     by_value
      - .address_space:  global
        .offset:         8
        .size:           8
        .value_kind:     global_buffer
      - .offset:         16
        .size:           8
        .value_kind:     by_value
      - .address_space:  global
        .offset:         24
        .size:           8
        .value_kind:     global_buffer
    .group_segment_fixed_size: 0
    .kernarg_segment_align: 8
    .kernarg_segment_size: 32
    .language:       OpenCL C
    .language_version:
      - 2
      - 0
    .max_flat_workgroup_size: 256
    .name:           _ZN9rocsparseL10abs_kernelILi256EdEEviiPKT0_lPS1_
    .private_segment_fixed_size: 0
    .sgpr_count:     18
    .sgpr_spill_count: 0
    .symbol:         _ZN9rocsparseL10abs_kernelILi256EdEEviiPKT0_lPS1_.kd
    .uniform_work_group_size: 1
    .uses_dynamic_stack: false
    .vgpr_count:     7
    .vgpr_spill_count: 0
    .wavefront_size: 32
    .workgroup_processor_mode: 1
  - .args:
      - .offset:         0
        .size:           4
        .value_kind:     by_value
      - .offset:         4
        .size:           4
        .value_kind:     by_value
      - .actual_access:  read_only
        .address_space:  global
        .offset:         8
        .size:           8
        .value_kind:     global_buffer
      - .offset:         16
        .size:           8
        .value_kind:     by_value
      - .address_space:  global
        .offset:         24
        .size:           8
        .value_kind:     global_buffer
      - .actual_access:  write_only
        .address_space:  global
        .offset:         32
        .size:           8
        .value_kind:     global_buffer
      - .offset:         40
        .size:           4
        .value_kind:     hidden_block_count_x
      - .offset:         44
        .size:           4
        .value_kind:     hidden_block_count_y
      - .offset:         48
        .size:           4
        .value_kind:     hidden_block_count_z
      - .offset:         52
        .size:           2
        .value_kind:     hidden_group_size_x
      - .offset:         54
        .size:           2
        .value_kind:     hidden_group_size_y
      - .offset:         56
        .size:           2
        .value_kind:     hidden_group_size_z
      - .offset:         58
        .size:           2
        .value_kind:     hidden_remainder_x
      - .offset:         60
        .size:           2
        .value_kind:     hidden_remainder_y
      - .offset:         62
        .size:           2
        .value_kind:     hidden_remainder_z
      - .offset:         80
        .size:           8
        .value_kind:     hidden_global_offset_x
      - .offset:         88
        .size:           8
        .value_kind:     hidden_global_offset_y
      - .offset:         96
        .size:           8
        .value_kind:     hidden_global_offset_z
      - .offset:         104
        .size:           2
        .value_kind:     hidden_grid_dims
    .group_segment_fixed_size: 16384
    .kernarg_segment_align: 8
    .kernarg_segment_size: 296
    .language:       OpenCL C
    .language_version:
      - 2
      - 0
    .max_flat_workgroup_size: 1024
    .name:           _ZN9rocsparseL27prune_dense2csr_nnz_kernel2ILi64ELi16EdEEviiPKT1_lS3_Pi
    .private_segment_fixed_size: 0
    .sgpr_count:     26
    .sgpr_spill_count: 0
    .symbol:         _ZN9rocsparseL27prune_dense2csr_nnz_kernel2ILi64ELi16EdEEviiPKT1_lS3_Pi.kd
    .uniform_work_group_size: 1
    .uses_dynamic_stack: false
    .vgpr_count:     33
    .vgpr_spill_count: 0
    .wavefront_size: 32
    .workgroup_processor_mode: 1
  - .args:
      - .offset:         0
        .size:           4
        .value_kind:     by_value
      - .offset:         4
        .size:           4
        .value_kind:     by_value
      - .offset:         8
        .size:           4
        .value_kind:     by_value
      - .actual_access:  read_only
        .address_space:  global
        .offset:         16
        .size:           8
        .value_kind:     global_buffer
      - .offset:         24
        .size:           8
        .value_kind:     by_value
      - .address_space:  global
        .offset:         32
        .size:           8
        .value_kind:     global_buffer
      - .actual_access:  write_only
        .address_space:  global
        .offset:         40
        .size:           8
        .value_kind:     global_buffer
      - .actual_access:  read_only
        .address_space:  global
        .offset:         48
        .size:           8
        .value_kind:     global_buffer
      - .actual_access:  write_only
        .address_space:  global
        .offset:         56
        .size:           8
        .value_kind:     global_buffer
    .group_segment_fixed_size: 0
    .kernarg_segment_align: 8
    .kernarg_segment_size: 64
    .language:       OpenCL C
    .language_version:
      - 2
      - 0
    .max_flat_workgroup_size: 512
    .name:           _ZN9rocsparseL38prune_dense2csr_kernel2_device_pointerILi16ELi32EfEEv21rocsparse_index_base_iiPKT1_lS4_PS2_PKiPi
    .private_segment_fixed_size: 0
    .sgpr_count:     22
    .sgpr_spill_count: 0
    .symbol:         _ZN9rocsparseL38prune_dense2csr_kernel2_device_pointerILi16ELi32EfEEv21rocsparse_index_base_iiPKT1_lS4_PS2_PKiPi.kd
    .uniform_work_group_size: 1
    .uses_dynamic_stack: false
    .vgpr_count:     13
    .vgpr_spill_count: 0
    .wavefront_size: 32
    .workgroup_processor_mode: 1
  - .args:
      - .offset:         0
        .size:           4
        .value_kind:     by_value
      - .offset:         4
        .size:           4
        .value_kind:     by_value
      - .offset:         8
        .size:           4
        .value_kind:     by_value
      - .actual_access:  read_only
        .address_space:  global
        .offset:         16
        .size:           8
        .value_kind:     global_buffer
      - .offset:         24
        .size:           8
        .value_kind:     by_value
      - .address_space:  global
        .offset:         32
        .size:           8
        .value_kind:     global_buffer
      - .actual_access:  write_only
        .address_space:  global
        .offset:         40
        .size:           8
        .value_kind:     global_buffer
      - .actual_access:  read_only
        .address_space:  global
        .offset:         48
        .size:           8
        .value_kind:     global_buffer
      - .actual_access:  write_only
        .address_space:  global
        .offset:         56
        .size:           8
        .value_kind:     global_buffer
    .group_segment_fixed_size: 0
    .kernarg_segment_align: 8
    .kernarg_segment_size: 64
    .language:       OpenCL C
    .language_version:
      - 2
      - 0
    .max_flat_workgroup_size: 1024
    .name:           _ZN9rocsparseL38prune_dense2csr_kernel2_device_pointerILi16ELi64EfEEv21rocsparse_index_base_iiPKT1_lS4_PS2_PKiPi
    .private_segment_fixed_size: 0
    .sgpr_count:     22
    .sgpr_spill_count: 0
    .symbol:         _ZN9rocsparseL38prune_dense2csr_kernel2_device_pointerILi16ELi64EfEEv21rocsparse_index_base_iiPKT1_lS4_PS2_PKiPi.kd
    .uniform_work_group_size: 1
    .uses_dynamic_stack: false
    .vgpr_count:     13
    .vgpr_spill_count: 0
    .wavefront_size: 32
    .workgroup_processor_mode: 1
  - .args:
      - .offset:         0
        .size:           4
        .value_kind:     by_value
      - .offset:         4
        .size:           4
        .value_kind:     by_value
      - .offset:         8
        .size:           4
        .value_kind:     by_value
      - .actual_access:  read_only
        .address_space:  global
        .offset:         16
        .size:           8
        .value_kind:     global_buffer
      - .offset:         24
        .size:           8
        .value_kind:     by_value
      - .address_space:  global
        .offset:         32
        .size:           8
        .value_kind:     global_buffer
      - .actual_access:  write_only
        .address_space:  global
        .offset:         40
        .size:           8
        .value_kind:     global_buffer
      - .actual_access:  read_only
        .address_space:  global
        .offset:         48
        .size:           8
        .value_kind:     global_buffer
      - .actual_access:  write_only
        .address_space:  global
        .offset:         56
        .size:           8
        .value_kind:     global_buffer
    .group_segment_fixed_size: 0
    .kernarg_segment_align: 8
    .kernarg_segment_size: 64
    .language:       OpenCL C
    .language_version:
      - 2
      - 0
    .max_flat_workgroup_size: 256
    .name:           _ZN9rocsparseL38prune_dense2csr_kernel2_device_pointerILi8ELi32EdEEv21rocsparse_index_base_iiPKT1_lS4_PS2_PKiPi
    .private_segment_fixed_size: 0
    .sgpr_count:     22
    .sgpr_spill_count: 0
    .symbol:         _ZN9rocsparseL38prune_dense2csr_kernel2_device_pointerILi8ELi32EdEEv21rocsparse_index_base_iiPKT1_lS4_PS2_PKiPi.kd
    .uniform_work_group_size: 1
    .uses_dynamic_stack: false
    .vgpr_count:     14
    .vgpr_spill_count: 0
    .wavefront_size: 32
    .workgroup_processor_mode: 1
  - .args:
      - .offset:         0
        .size:           4
        .value_kind:     by_value
      - .offset:         4
        .size:           4
        .value_kind:     by_value
      - .offset:         8
        .size:           4
        .value_kind:     by_value
      - .actual_access:  read_only
        .address_space:  global
        .offset:         16
        .size:           8
        .value_kind:     global_buffer
      - .offset:         24
        .size:           8
        .value_kind:     by_value
      - .address_space:  global
        .offset:         32
        .size:           8
        .value_kind:     global_buffer
      - .actual_access:  write_only
        .address_space:  global
        .offset:         40
        .size:           8
        .value_kind:     global_buffer
      - .actual_access:  read_only
        .address_space:  global
        .offset:         48
        .size:           8
        .value_kind:     global_buffer
      - .actual_access:  write_only
        .address_space:  global
        .offset:         56
        .size:           8
        .value_kind:     global_buffer
    .group_segment_fixed_size: 0
    .kernarg_segment_align: 8
    .kernarg_segment_size: 64
    .language:       OpenCL C
    .language_version:
      - 2
      - 0
    .max_flat_workgroup_size: 512
    .name:           _ZN9rocsparseL38prune_dense2csr_kernel2_device_pointerILi8ELi64EdEEv21rocsparse_index_base_iiPKT1_lS4_PS2_PKiPi
    .private_segment_fixed_size: 0
    .sgpr_count:     22
    .sgpr_spill_count: 0
    .symbol:         _ZN9rocsparseL38prune_dense2csr_kernel2_device_pointerILi8ELi64EdEEv21rocsparse_index_base_iiPKT1_lS4_PS2_PKiPi.kd
    .uniform_work_group_size: 1
    .uses_dynamic_stack: false
    .vgpr_count:     14
    .vgpr_spill_count: 0
    .wavefront_size: 32
    .workgroup_processor_mode: 1
amdhsa.target:   amdgcn-amd-amdhsa--gfx1100
amdhsa.version:
  - 1
  - 2
...

	.end_amdgpu_metadata
